;; amdgpu-corpus repo=ROCm/rocFFT kind=compiled arch=gfx1201 opt=O3
	.text
	.amdgcn_target "amdgcn-amd-amdhsa--gfx1201"
	.amdhsa_code_object_version 6
	.protected	fft_rtc_fwd_len1782_factors_11_3_3_3_3_2_wgs_99_tpt_99_halfLds_half_op_CI_CI_unitstride_sbrr_R2C_dirReg ; -- Begin function fft_rtc_fwd_len1782_factors_11_3_3_3_3_2_wgs_99_tpt_99_halfLds_half_op_CI_CI_unitstride_sbrr_R2C_dirReg
	.globl	fft_rtc_fwd_len1782_factors_11_3_3_3_3_2_wgs_99_tpt_99_halfLds_half_op_CI_CI_unitstride_sbrr_R2C_dirReg
	.p2align	8
	.type	fft_rtc_fwd_len1782_factors_11_3_3_3_3_2_wgs_99_tpt_99_halfLds_half_op_CI_CI_unitstride_sbrr_R2C_dirReg,@function
fft_rtc_fwd_len1782_factors_11_3_3_3_3_2_wgs_99_tpt_99_halfLds_half_op_CI_CI_unitstride_sbrr_R2C_dirReg: ; @fft_rtc_fwd_len1782_factors_11_3_3_3_3_2_wgs_99_tpt_99_halfLds_half_op_CI_CI_unitstride_sbrr_R2C_dirReg
; %bb.0:
	s_clause 0x2
	s_load_b128 s[8:11], s[0:1], 0x0
	s_load_b128 s[4:7], s[0:1], 0x58
	;; [unrolled: 1-line block ×3, first 2 shown]
	v_mul_u32_u24_e32 v1, 0x296, v0
	v_mov_b32_e32 v8, 0
	v_mov_b32_e32 v9, 0
	s_delay_alu instid0(VALU_DEP_3) | instskip(NEXT) | instid1(VALU_DEP_1)
	v_lshrrev_b32_e32 v1, 16, v1
	v_dual_mov_b32 v3, 0 :: v_dual_add_nc_u32 v10, ttmp9, v1
	s_delay_alu instid0(VALU_DEP_1) | instskip(SKIP_2) | instid1(VALU_DEP_1)
	v_mov_b32_e32 v11, v3
	s_wait_kmcnt 0x0
	v_cmp_lt_u64_e64 s2, s[10:11], 2
	s_and_b32 vcc_lo, exec_lo, s2
	s_cbranch_vccnz .LBB0_8
; %bb.1:
	s_load_b64 s[2:3], s[0:1], 0x10
	v_mov_b32_e32 v8, 0
	v_mov_b32_e32 v9, 0
	s_delay_alu instid0(VALU_DEP_2)
	v_mov_b32_e32 v1, v8
	s_add_nc_u64 s[16:17], s[14:15], 8
	s_add_nc_u64 s[18:19], s[12:13], 8
	s_mov_b64 s[20:21], 1
	v_mov_b32_e32 v2, v9
	s_wait_kmcnt 0x0
	s_add_nc_u64 s[22:23], s[2:3], 8
	s_mov_b32 s3, 0
.LBB0_2:                                ; =>This Inner Loop Header: Depth=1
	s_load_b64 s[24:25], s[22:23], 0x0
                                        ; implicit-def: $vgpr5_vgpr6
	s_mov_b32 s2, exec_lo
	s_wait_kmcnt 0x0
	v_or_b32_e32 v4, s25, v11
	s_delay_alu instid0(VALU_DEP_1)
	v_cmpx_ne_u64_e32 0, v[3:4]
	s_wait_alu 0xfffe
	s_xor_b32 s26, exec_lo, s2
	s_cbranch_execz .LBB0_4
; %bb.3:                                ;   in Loop: Header=BB0_2 Depth=1
	s_cvt_f32_u32 s2, s24
	s_cvt_f32_u32 s27, s25
	s_sub_nc_u64 s[30:31], 0, s[24:25]
	s_wait_alu 0xfffe
	s_delay_alu instid0(SALU_CYCLE_1) | instskip(SKIP_1) | instid1(SALU_CYCLE_2)
	s_fmamk_f32 s2, s27, 0x4f800000, s2
	s_wait_alu 0xfffe
	v_s_rcp_f32 s2, s2
	s_delay_alu instid0(TRANS32_DEP_1) | instskip(SKIP_1) | instid1(SALU_CYCLE_2)
	s_mul_f32 s2, s2, 0x5f7ffffc
	s_wait_alu 0xfffe
	s_mul_f32 s27, s2, 0x2f800000
	s_wait_alu 0xfffe
	s_delay_alu instid0(SALU_CYCLE_2) | instskip(SKIP_1) | instid1(SALU_CYCLE_2)
	s_trunc_f32 s27, s27
	s_wait_alu 0xfffe
	s_fmamk_f32 s2, s27, 0xcf800000, s2
	s_cvt_u32_f32 s29, s27
	s_wait_alu 0xfffe
	s_delay_alu instid0(SALU_CYCLE_1) | instskip(SKIP_1) | instid1(SALU_CYCLE_2)
	s_cvt_u32_f32 s28, s2
	s_wait_alu 0xfffe
	s_mul_u64 s[34:35], s[30:31], s[28:29]
	s_wait_alu 0xfffe
	s_mul_hi_u32 s37, s28, s35
	s_mul_i32 s36, s28, s35
	s_mul_hi_u32 s2, s28, s34
	s_mul_i32 s33, s29, s34
	s_wait_alu 0xfffe
	s_add_nc_u64 s[36:37], s[2:3], s[36:37]
	s_mul_hi_u32 s27, s29, s34
	s_mul_hi_u32 s38, s29, s35
	s_add_co_u32 s2, s36, s33
	s_wait_alu 0xfffe
	s_add_co_ci_u32 s2, s37, s27
	s_mul_i32 s34, s29, s35
	s_add_co_ci_u32 s35, s38, 0
	s_wait_alu 0xfffe
	s_add_nc_u64 s[34:35], s[2:3], s[34:35]
	s_wait_alu 0xfffe
	v_add_co_u32 v4, s2, s28, s34
	s_delay_alu instid0(VALU_DEP_1) | instskip(SKIP_1) | instid1(VALU_DEP_1)
	s_cmp_lg_u32 s2, 0
	s_add_co_ci_u32 s29, s29, s35
	v_readfirstlane_b32 s28, v4
	s_wait_alu 0xfffe
	s_delay_alu instid0(VALU_DEP_1)
	s_mul_u64 s[30:31], s[30:31], s[28:29]
	s_wait_alu 0xfffe
	s_mul_hi_u32 s35, s28, s31
	s_mul_i32 s34, s28, s31
	s_mul_hi_u32 s2, s28, s30
	s_mul_i32 s33, s29, s30
	s_wait_alu 0xfffe
	s_add_nc_u64 s[34:35], s[2:3], s[34:35]
	s_mul_hi_u32 s27, s29, s30
	s_mul_hi_u32 s28, s29, s31
	s_wait_alu 0xfffe
	s_add_co_u32 s2, s34, s33
	s_add_co_ci_u32 s2, s35, s27
	s_mul_i32 s30, s29, s31
	s_add_co_ci_u32 s31, s28, 0
	s_wait_alu 0xfffe
	s_add_nc_u64 s[30:31], s[2:3], s[30:31]
	s_wait_alu 0xfffe
	v_add_co_u32 v6, s2, v4, s30
	s_delay_alu instid0(VALU_DEP_1) | instskip(SKIP_1) | instid1(VALU_DEP_1)
	s_cmp_lg_u32 s2, 0
	s_add_co_ci_u32 s2, s29, s31
	v_mul_hi_u32 v14, v10, v6
	s_wait_alu 0xfffe
	v_mad_co_u64_u32 v[4:5], null, v10, s2, 0
	v_mad_co_u64_u32 v[6:7], null, v11, v6, 0
	;; [unrolled: 1-line block ×3, first 2 shown]
	s_delay_alu instid0(VALU_DEP_3) | instskip(SKIP_1) | instid1(VALU_DEP_4)
	v_add_co_u32 v4, vcc_lo, v14, v4
	s_wait_alu 0xfffd
	v_add_co_ci_u32_e32 v5, vcc_lo, 0, v5, vcc_lo
	s_delay_alu instid0(VALU_DEP_2) | instskip(SKIP_1) | instid1(VALU_DEP_2)
	v_add_co_u32 v4, vcc_lo, v4, v6
	s_wait_alu 0xfffd
	v_add_co_ci_u32_e32 v4, vcc_lo, v5, v7, vcc_lo
	s_wait_alu 0xfffd
	v_add_co_ci_u32_e32 v5, vcc_lo, 0, v13, vcc_lo
	s_delay_alu instid0(VALU_DEP_2) | instskip(SKIP_1) | instid1(VALU_DEP_2)
	v_add_co_u32 v7, vcc_lo, v4, v12
	s_wait_alu 0xfffd
	v_add_co_ci_u32_e32 v6, vcc_lo, 0, v5, vcc_lo
	s_delay_alu instid0(VALU_DEP_2) | instskip(SKIP_1) | instid1(VALU_DEP_3)
	v_mul_lo_u32 v12, s25, v7
	v_mad_co_u64_u32 v[4:5], null, s24, v7, 0
	v_mul_lo_u32 v13, s24, v6
	s_delay_alu instid0(VALU_DEP_2) | instskip(NEXT) | instid1(VALU_DEP_2)
	v_sub_co_u32 v4, vcc_lo, v10, v4
	v_add3_u32 v5, v5, v13, v12
	s_delay_alu instid0(VALU_DEP_1) | instskip(SKIP_1) | instid1(VALU_DEP_1)
	v_sub_nc_u32_e32 v12, v11, v5
	s_wait_alu 0xfffd
	v_subrev_co_ci_u32_e64 v12, s2, s25, v12, vcc_lo
	v_add_co_u32 v13, s2, v7, 2
	s_wait_alu 0xf1ff
	v_add_co_ci_u32_e64 v14, s2, 0, v6, s2
	v_sub_co_u32 v15, s2, v4, s24
	v_sub_co_ci_u32_e32 v5, vcc_lo, v11, v5, vcc_lo
	s_wait_alu 0xf1ff
	v_subrev_co_ci_u32_e64 v12, s2, 0, v12, s2
	s_delay_alu instid0(VALU_DEP_3) | instskip(NEXT) | instid1(VALU_DEP_3)
	v_cmp_le_u32_e32 vcc_lo, s24, v15
	v_cmp_eq_u32_e64 s2, s25, v5
	s_wait_alu 0xfffd
	v_cndmask_b32_e64 v15, 0, -1, vcc_lo
	v_cmp_le_u32_e32 vcc_lo, s25, v12
	s_wait_alu 0xfffd
	v_cndmask_b32_e64 v16, 0, -1, vcc_lo
	v_cmp_le_u32_e32 vcc_lo, s24, v4
	;; [unrolled: 3-line block ×3, first 2 shown]
	s_wait_alu 0xfffd
	v_cndmask_b32_e64 v17, 0, -1, vcc_lo
	v_cmp_eq_u32_e32 vcc_lo, s25, v12
	s_wait_alu 0xf1ff
	s_delay_alu instid0(VALU_DEP_2)
	v_cndmask_b32_e64 v4, v17, v4, s2
	s_wait_alu 0xfffd
	v_cndmask_b32_e32 v12, v16, v15, vcc_lo
	v_add_co_u32 v15, vcc_lo, v7, 1
	s_wait_alu 0xfffd
	v_add_co_ci_u32_e32 v16, vcc_lo, 0, v6, vcc_lo
	s_delay_alu instid0(VALU_DEP_3) | instskip(SKIP_1) | instid1(VALU_DEP_2)
	v_cmp_ne_u32_e32 vcc_lo, 0, v12
	s_wait_alu 0xfffd
	v_dual_cndmask_b32 v5, v16, v14 :: v_dual_cndmask_b32 v12, v15, v13
	v_cmp_ne_u32_e32 vcc_lo, 0, v4
	s_wait_alu 0xfffd
	s_delay_alu instid0(VALU_DEP_2)
	v_dual_cndmask_b32 v6, v6, v5 :: v_dual_cndmask_b32 v5, v7, v12
.LBB0_4:                                ;   in Loop: Header=BB0_2 Depth=1
	s_wait_alu 0xfffe
	s_and_not1_saveexec_b32 s2, s26
	s_cbranch_execz .LBB0_6
; %bb.5:                                ;   in Loop: Header=BB0_2 Depth=1
	v_cvt_f32_u32_e32 v4, s24
	s_sub_co_i32 s26, 0, s24
	s_delay_alu instid0(VALU_DEP_1) | instskip(NEXT) | instid1(TRANS32_DEP_1)
	v_rcp_iflag_f32_e32 v4, v4
	v_mul_f32_e32 v4, 0x4f7ffffe, v4
	s_delay_alu instid0(VALU_DEP_1) | instskip(SKIP_1) | instid1(VALU_DEP_1)
	v_cvt_u32_f32_e32 v4, v4
	s_wait_alu 0xfffe
	v_mul_lo_u32 v5, s26, v4
	s_delay_alu instid0(VALU_DEP_1) | instskip(NEXT) | instid1(VALU_DEP_1)
	v_mul_hi_u32 v5, v4, v5
	v_add_nc_u32_e32 v4, v4, v5
	s_delay_alu instid0(VALU_DEP_1) | instskip(NEXT) | instid1(VALU_DEP_1)
	v_mul_hi_u32 v4, v10, v4
	v_mul_lo_u32 v5, v4, s24
	v_add_nc_u32_e32 v6, 1, v4
	s_delay_alu instid0(VALU_DEP_2) | instskip(NEXT) | instid1(VALU_DEP_1)
	v_sub_nc_u32_e32 v5, v10, v5
	v_subrev_nc_u32_e32 v7, s24, v5
	v_cmp_le_u32_e32 vcc_lo, s24, v5
	s_wait_alu 0xfffd
	s_delay_alu instid0(VALU_DEP_2) | instskip(NEXT) | instid1(VALU_DEP_1)
	v_dual_cndmask_b32 v5, v5, v7 :: v_dual_cndmask_b32 v4, v4, v6
	v_cmp_le_u32_e32 vcc_lo, s24, v5
	s_delay_alu instid0(VALU_DEP_2) | instskip(SKIP_1) | instid1(VALU_DEP_1)
	v_add_nc_u32_e32 v6, 1, v4
	s_wait_alu 0xfffd
	v_dual_cndmask_b32 v5, v4, v6 :: v_dual_mov_b32 v6, v3
.LBB0_6:                                ;   in Loop: Header=BB0_2 Depth=1
	s_wait_alu 0xfffe
	s_or_b32 exec_lo, exec_lo, s2
	s_delay_alu instid0(VALU_DEP_1) | instskip(NEXT) | instid1(VALU_DEP_2)
	v_mul_lo_u32 v4, v6, s24
	v_mul_lo_u32 v7, v5, s25
	s_load_b64 s[26:27], s[18:19], 0x0
	v_mad_co_u64_u32 v[12:13], null, v5, s24, 0
	s_load_b64 s[24:25], s[16:17], 0x0
	s_add_nc_u64 s[20:21], s[20:21], 1
	s_add_nc_u64 s[16:17], s[16:17], 8
	s_wait_alu 0xfffe
	v_cmp_ge_u64_e64 s2, s[20:21], s[10:11]
	s_add_nc_u64 s[18:19], s[18:19], 8
	s_add_nc_u64 s[22:23], s[22:23], 8
	v_add3_u32 v4, v13, v7, v4
	v_sub_co_u32 v7, vcc_lo, v10, v12
	s_wait_alu 0xfffd
	s_delay_alu instid0(VALU_DEP_2) | instskip(SKIP_2) | instid1(VALU_DEP_1)
	v_sub_co_ci_u32_e32 v4, vcc_lo, v11, v4, vcc_lo
	s_and_b32 vcc_lo, exec_lo, s2
	s_wait_kmcnt 0x0
	v_mul_lo_u32 v10, s26, v4
	v_mul_lo_u32 v11, s27, v7
	v_mad_co_u64_u32 v[8:9], null, s26, v7, v[8:9]
	v_mul_lo_u32 v4, s24, v4
	v_mul_lo_u32 v12, s25, v7
	v_mad_co_u64_u32 v[1:2], null, s24, v7, v[1:2]
	s_delay_alu instid0(VALU_DEP_4) | instskip(NEXT) | instid1(VALU_DEP_2)
	v_add3_u32 v9, v11, v9, v10
	v_add3_u32 v2, v12, v2, v4
	s_wait_alu 0xfffe
	s_cbranch_vccnz .LBB0_9
; %bb.7:                                ;   in Loop: Header=BB0_2 Depth=1
	v_dual_mov_b32 v11, v6 :: v_dual_mov_b32 v10, v5
	s_branch .LBB0_2
.LBB0_8:
	v_dual_mov_b32 v1, v8 :: v_dual_mov_b32 v2, v9
	v_dual_mov_b32 v5, v10 :: v_dual_mov_b32 v6, v11
.LBB0_9:
	s_load_b64 s[0:1], s[0:1], 0x28
	v_mul_hi_u32 v4, 0x295fad5, v0
	s_lshl_b64 s[10:11], s[10:11], 3
                                        ; implicit-def: $vgpr3
                                        ; implicit-def: $vgpr7
	s_wait_kmcnt 0x0
	v_cmp_gt_u64_e32 vcc_lo, s[0:1], v[5:6]
	v_cmp_le_u64_e64 s0, s[0:1], v[5:6]
	s_delay_alu instid0(VALU_DEP_1)
	s_and_saveexec_b32 s1, s0
	s_wait_alu 0xfffe
	s_xor_b32 s0, exec_lo, s1
; %bb.10:
	v_mul_u32_u24_e32 v3, 0x63, v4
                                        ; implicit-def: $vgpr4
                                        ; implicit-def: $vgpr8_vgpr9
	s_delay_alu instid0(VALU_DEP_1) | instskip(NEXT) | instid1(VALU_DEP_1)
	v_sub_nc_u32_e32 v3, v0, v3
                                        ; implicit-def: $vgpr0
	v_add_nc_u32_e32 v7, 0x63, v3
; %bb.11:
	s_wait_alu 0xfffe
	s_or_saveexec_b32 s1, s0
	s_add_nc_u64 s[2:3], s[14:15], s[10:11]
	s_wait_alu 0xfffe
	s_xor_b32 exec_lo, exec_lo, s1
	s_cbranch_execz .LBB0_13
; %bb.12:
	s_add_nc_u64 s[10:11], s[12:13], s[10:11]
	s_load_b64 s[10:11], s[10:11], 0x0
	s_wait_kmcnt 0x0
	v_mul_lo_u32 v3, s11, v5
	v_mul_lo_u32 v7, s10, v6
	v_mad_co_u64_u32 v[10:11], null, s10, v5, 0
	s_delay_alu instid0(VALU_DEP_1) | instskip(SKIP_2) | instid1(VALU_DEP_3)
	v_add3_u32 v11, v11, v7, v3
	v_mul_u32_u24_e32 v3, 0x63, v4
	v_lshlrev_b64_e32 v[7:8], 2, v[8:9]
	v_lshlrev_b64_e32 v[10:11], 2, v[10:11]
	s_delay_alu instid0(VALU_DEP_3) | instskip(NEXT) | instid1(VALU_DEP_1)
	v_sub_nc_u32_e32 v3, v0, v3
	v_lshlrev_b32_e32 v9, 2, v3
	s_delay_alu instid0(VALU_DEP_3) | instskip(SKIP_1) | instid1(VALU_DEP_4)
	v_add_co_u32 v0, s0, s4, v10
	s_wait_alu 0xf1ff
	v_add_co_ci_u32_e64 v4, s0, s5, v11, s0
	s_delay_alu instid0(VALU_DEP_2) | instskip(SKIP_1) | instid1(VALU_DEP_2)
	v_add_co_u32 v0, s0, v0, v7
	s_wait_alu 0xf1ff
	v_add_co_ci_u32_e64 v4, s0, v4, v8, s0
	s_delay_alu instid0(VALU_DEP_2) | instskip(SKIP_1) | instid1(VALU_DEP_2)
	v_add_co_u32 v7, s0, v0, v9
	s_wait_alu 0xf1ff
	v_add_co_ci_u32_e64 v8, s0, 0, v4, s0
	s_clause 0x11
	global_load_b32 v0, v[7:8], off
	global_load_b32 v4, v[7:8], off offset:396
	global_load_b32 v10, v[7:8], off offset:792
	;; [unrolled: 1-line block ×17, first 2 shown]
	v_add_nc_u32_e32 v9, 0, v9
	v_add_nc_u32_e32 v7, 0x63, v3
	s_delay_alu instid0(VALU_DEP_2)
	v_add_nc_u32_e32 v25, 0x200, v9
	v_add_nc_u32_e32 v26, 0x400, v9
	;; [unrolled: 1-line block ×8, first 2 shown]
	s_wait_loadcnt 0x10
	ds_store_2addr_b32 v9, v0, v4 offset1:99
	s_wait_loadcnt 0xe
	ds_store_2addr_b32 v25, v10, v11 offset0:70 offset1:169
	s_wait_loadcnt 0xc
	ds_store_2addr_b32 v26, v12, v13 offset0:140 offset1:239
	;; [unrolled: 2-line block ×8, first 2 shown]
.LBB0_13:
	s_or_b32 exec_lo, exec_lo, s1
	v_lshl_add_u32 v0, v3, 2, 0
	s_load_b64 s[2:3], s[2:3], 0x0
	global_wb scope:SCOPE_SE
	s_wait_dscnt 0x0
	s_wait_kmcnt 0x0
	s_barrier_signal -1
	s_barrier_wait -1
	v_add_nc_u32_e32 v4, 0x200, v0
	global_inv scope:SCOPE_SE
	ds_load_2addr_b32 v[8:9], v0 offset1:99
	v_add_nc_u32_e32 v36, 0x400, v0
	v_add_nc_u32_e32 v12, 0x600, v0
	ds_load_2addr_b32 v[24:25], v4 offset0:34 offset1:133
	v_add_nc_u32_e32 v31, 0x1800, v0
	v_add_nc_u32_e32 v13, 0x800, v0
	ds_load_2addr_b32 v[26:27], v36 offset0:68 offset1:167
	ds_load_2addr_b32 v[28:29], v12 offset0:102 offset1:201
	v_add_nc_u32_e32 v32, 0xc00, v0
	v_add_nc_u32_e32 v14, 0xe00, v0
	;; [unrolled: 1-line block ×4, first 2 shown]
	ds_load_2addr_b32 v[10:11], v31 offset0:84 offset1:183
	v_add_nc_u32_e32 v35, 0x1600, v0
	ds_load_2addr_b32 v[22:23], v13 offset0:136 offset1:235
	ds_load_2addr_b32 v[20:21], v32 offset0:42 offset1:141
	ds_load_2addr_b32 v[18:19], v14 offset0:76 offset1:175
	ds_load_2addr_b32 v[16:17], v33 offset0:110 offset1:209
	ds_load_2addr_b32 v[14:15], v34 offset0:16 offset1:115
	ds_load_2addr_b32 v[12:13], v35 offset0:50 offset1:149
	v_mad_u32_u24 v30, v3, 40, v0
	global_wb scope:SCOPE_SE
	s_wait_dscnt 0x0
	s_barrier_signal -1
	s_barrier_wait -1
	global_inv scope:SCOPE_SE
	v_lshrrev_b32_e32 v40, 16, v8
	v_alignbit_b32 v39, s0, v8, 16
	s_mov_b32 s1, exec_lo
	v_pk_add_f16 v37, v8, v24
	s_delay_alu instid0(VALU_DEP_1) | instskip(SKIP_1) | instid1(VALU_DEP_2)
	v_pk_add_f16 v37, v37, v26
	v_pk_add_f16 v38, v24, v10 neg_lo:[0,1] neg_hi:[0,1]
	v_pk_add_f16 v37, v37, v28
	v_pk_add_f16 v24, v10, v24
	s_delay_alu instid0(VALU_DEP_3) | instskip(NEXT) | instid1(VALU_DEP_3)
	v_lshrrev_b32_e32 v41, 16, v38
	v_pk_add_f16 v37, v37, v22
	s_delay_alu instid0(VALU_DEP_3)
	v_pk_mul_f16 v42, 0x3abb36a6, v24
	v_lshrrev_b32_e32 v43, 16, v24
	v_mul_f16_e32 v44, 0xbb47, v38
	v_mul_f16_e32 v47, 0xb853, v41
	v_pk_add_f16 v37, v37, v20
	v_mul_f16_e32 v45, 0xbbeb, v38
	v_mul_f16_e32 v46, 0xba0c, v38
	v_pk_fma_f16 v48, 0xbb47b853, v38, v42 op_sel:[0,0,1] op_sel_hi:[1,1,0] neg_lo:[0,1,0] neg_hi:[0,1,0]
	v_fma_f16 v52, v24, 0x3abb, -v47
	v_pk_add_f16 v37, v37, v18
	v_pk_fma_f16 v42, 0xbb47b853, v38, v42 op_sel:[0,0,1] op_sel_hi:[1,1,0]
	v_fmamk_f16 v49, v43, 0x36a6, v44
	v_fmac_f16_e32 v47, 0x3abb, v24
	v_add_f16_e32 v52, v8, v52
	v_pk_add_f16 v37, v37, v16
	v_fma_f16 v44, v43, 0x36a6, -v44
	v_mul_f16_e32 v50, 0xbbeb, v41
	v_fmamk_f16 v51, v43, 0xb08e, v45
	v_fma_f16 v45, v43, 0xb08e, -v45
	v_pk_add_f16 v37, v37, v14
	v_bfi_b32 v53, 0xffff, v42, v48
	v_add_f16_e32 v49, v40, v49
	v_add_f16_e32 v47, v8, v47
	v_mul_f16_e32 v41, 0xba0c, v41
	v_pk_add_f16 v37, v37, v12
	v_alignbit_b32 v42, s0, v42, 16
	v_add_f16_e32 v44, v40, v44
	v_fma_f16 v54, v24, 0xb08e, -v50
	v_fmac_f16_e32 v50, 0xb08e, v24
	v_pk_add_f16 v10, v37, v10
	v_pk_add_f16 v37, v26, v12 neg_lo:[0,1] neg_hi:[0,1]
	v_pk_add_f16 v12, v12, v26
	v_fmamk_f16 v26, v43, 0xb93d, v46
	v_fma_f16 v43, v43, 0xb93d, -v46
	v_pk_add_f16 v53, v8, v53 op_sel:[1,0] op_sel_hi:[0,1]
	v_lshrrev_b32_e32 v56, 16, v37
	v_pk_mul_f16 v57, 0x36a6b93d, v12
	v_lshrrev_b32_e32 v60, 16, v12
	v_mul_f16_e32 v61, 0xba0c, v37
	v_pk_add_f16 v42, v8, v42
	v_mul_f16_e32 v58, 0xbb47, v56
	v_pk_fma_f16 v46, 0xba0cbb47, v37, v57 op_sel:[0,0,1] op_sel_hi:[1,1,0] neg_lo:[0,1,0] neg_hi:[0,1,0]
	v_pk_fma_f16 v57, 0xba0cbb47, v37, v57 op_sel:[0,0,1] op_sel_hi:[1,1,0]
	v_add_f16_e32 v54, v8, v54
	v_add_f16_e32 v50, v8, v50
	v_fma_f16 v59, v12, 0x36a6, -v58
	v_fmac_f16_e32 v58, 0x36a6, v12
	v_bfi_b32 v62, 0xffff, v57, v46
	v_fma_f16 v55, v24, 0xb93d, -v41
	v_alignbit_b32 v57, s0, v57, 16
	v_add_f16_e32 v52, v59, v52
	v_fmamk_f16 v59, v60, 0xb93d, v61
	v_add_f16_e32 v47, v58, v47
	v_mul_f16_e32 v58, 0x3482, v56
	v_pk_add_f16 v53, v62, v53
	v_mul_f16_e32 v62, 0x3482, v37
	v_add_f16_e32 v49, v59, v49
	v_fma_f16 v59, v60, 0xb93d, -v61
	v_fma_f16 v61, v12, 0xbbad, -v58
	v_fmac_f16_e32 v58, 0xbbad, v12
	v_mul_f16_e32 v56, 0x3beb, v56
	v_add_f16_e32 v45, v40, v45
	v_add_f16_e32 v44, v59, v44
	v_pk_add_f16 v59, v28, v14 neg_lo:[0,1] neg_hi:[0,1]
	v_fmac_f16_e32 v41, 0xb93d, v24
	v_add_f16_e32 v55, v8, v55
	v_pk_add_f16 v42, v57, v42
	v_add_f16_e32 v54, v61, v54
	v_add_f16_e32 v50, v58, v50
	v_fma_f16 v57, v60, 0xbbad, -v62
	v_mul_f16_e32 v58, 0x3beb, v37
	v_pk_add_f16 v14, v14, v28
	v_fma_f16 v28, v12, 0xb08e, -v56
	v_lshrrev_b32_e32 v61, 16, v59
	v_add_f16_e32 v51, v40, v51
	v_add_f16_e32 v26, v40, v26
	;; [unrolled: 1-line block ×3, first 2 shown]
	v_fmamk_f16 v63, v60, 0xbbad, v62
	v_add_f16_e32 v45, v57, v45
	v_fmamk_f16 v57, v60, 0xb08e, v58
	v_pk_mul_f16 v62, 0xb08ebbad, v14
	v_add_f16_e32 v28, v28, v55
	v_fmac_f16_e32 v56, 0xb08e, v12
	v_mul_f16_e32 v55, 0xbbeb, v61
	v_add_f16_e32 v43, v40, v43
	v_add_f16_e32 v51, v63, v51
	;; [unrolled: 1-line block ×3, first 2 shown]
	v_pk_fma_f16 v57, 0x3482bbeb, v59, v62 op_sel:[0,0,1] op_sel_hi:[1,1,0] neg_lo:[0,1,0] neg_hi:[0,1,0]
	v_pk_fma_f16 v62, 0x3482bbeb, v59, v62 op_sel:[0,0,1] op_sel_hi:[1,1,0]
	v_add_f16_e32 v41, v56, v41
	v_fma_f16 v56, v60, 0xb08e, -v58
	v_fma_f16 v58, v14, 0xb08e, -v55
	v_fmac_f16_e32 v55, 0xb08e, v14
	v_lshrrev_b32_e32 v63, 16, v14
	v_mul_f16_e32 v64, 0x3482, v59
	v_bfi_b32 v60, 0xffff, v62, v57
	v_add_f16_e32 v43, v56, v43
	v_add_f16_e32 v47, v55, v47
	v_mul_f16_e32 v56, 0x3b47, v61
	v_fmamk_f16 v55, v63, 0xbbad, v64
	v_add_f16_e32 v52, v58, v52
	v_pk_add_f16 v53, v60, v53
	v_alignbit_b32 v58, s0, v62, 16
	v_mul_f16_e32 v60, 0x3b47, v59
	v_add_f16_e32 v49, v55, v49
	v_fma_f16 v55, v14, 0x36a6, -v56
	v_mul_f16_e32 v61, 0xb853, v61
	v_pk_add_f16 v42, v58, v42
	v_fmamk_f16 v58, v63, 0x36a6, v60
	v_fmac_f16_e32 v56, 0x36a6, v14
	v_add_f16_e32 v54, v55, v54
	v_fma_f16 v55, v63, 0x36a6, -v60
	v_pk_add_f16 v60, v22, v16 neg_lo:[0,1] neg_hi:[0,1]
	v_fma_f16 v62, v63, 0xbbad, -v64
	v_add_f16_e32 v51, v58, v51
	v_fma_f16 v58, v14, 0x3abb, -v61
	v_add_f16_e32 v50, v56, v50
	v_mul_f16_e32 v56, 0xb853, v59
	v_add_f16_e32 v45, v55, v45
	v_lshrrev_b32_e32 v55, 16, v60
	v_pk_add_f16 v16, v16, v22
	v_add_f16_e32 v44, v62, v44
	v_add_f16_e32 v28, v58, v28
	v_fmamk_f16 v22, v63, 0x3abb, v56
	v_fmac_f16_e32 v61, 0x3abb, v14
	v_fma_f16 v56, v63, 0x3abb, -v56
	v_mul_f16_e32 v58, 0xba0c, v55
	v_pk_mul_f16 v62, 0xb93db08e, v16
	v_add_f16_e32 v22, v22, v26
	v_add_f16_e32 v26, v61, v41
	;; [unrolled: 1-line block ×3, first 2 shown]
	v_fma_f16 v43, v16, 0xb93d, -v58
	v_pk_fma_f16 v56, 0x3bebba0c, v60, v62 op_sel:[0,0,1] op_sel_hi:[1,1,0] neg_lo:[0,1,0] neg_hi:[0,1,0]
	v_pk_fma_f16 v61, 0x3bebba0c, v60, v62 op_sel:[0,0,1] op_sel_hi:[1,1,0]
	v_fmac_f16_e32 v58, 0xb93d, v16
	v_lshrrev_b32_e32 v62, 16, v16
	v_mul_f16_e32 v63, 0x3beb, v60
	v_add_f16_e32 v43, v43, v52
	v_bfi_b32 v52, 0xffff, v61, v56
	v_add_f16_e32 v47, v58, v47
	v_mul_f16_e32 v58, 0xb853, v55
	v_fmamk_f16 v64, v62, 0xb08e, v63
	v_mul_f16_e32 v55, 0xb482, v55
	v_pk_add_f16 v52, v52, v53
	v_fma_f16 v53, v62, 0xb08e, -v63
	v_fma_f16 v63, v16, 0x3abb, -v58
	v_mul_f16_e32 v65, 0xb853, v60
	v_add_f16_e32 v49, v64, v49
	v_add_f16_e32 v40, v40, v48
	;; [unrolled: 1-line block ×4, first 2 shown]
	v_fma_f16 v54, v16, 0xbbad, -v55
	v_pk_add_f16 v63, v20, v18 neg_lo:[0,1] neg_hi:[0,1]
	v_fmamk_f16 v64, v62, 0x3abb, v65
	v_fmac_f16_e32 v55, 0xbbad, v16
	v_pk_add_f16 v18, v18, v20
	v_add_f16_e32 v28, v54, v28
	v_lshrrev_b32_e32 v54, 16, v63
	v_add_f16_e32 v51, v64, v51
	v_mul_f16_e32 v64, 0xb482, v60
	v_add_f16_e32 v26, v55, v26
	v_add_f16_e32 v40, v46, v40
	v_mul_f16_e32 v20, 0xb482, v54
	v_pk_mul_f16 v55, 0xbbad3abb, v18
	v_fma_f16 v46, v62, 0xbbad, -v64
	v_fmac_f16_e32 v58, 0x3abb, v16
	v_add_f16_e32 v40, v57, v40
	v_fma_f16 v48, v18, 0xbbad, -v20
	v_fmac_f16_e32 v20, 0xbbad, v18
	v_add_f16_e32 v41, v46, v41
	v_pk_fma_f16 v46, 0x3853b482, v63, v55 op_sel:[0,0,1] op_sel_hi:[1,1,0] neg_lo:[0,1,0] neg_hi:[0,1,0]
	v_add_f16_e32 v50, v58, v50
	v_fma_f16 v58, v62, 0x3abb, -v65
	v_add_f16_e32 v20, v20, v47
	v_pk_fma_f16 v47, 0x3853b482, v63, v55 op_sel:[0,0,1] op_sel_hi:[1,1,0]
	v_fmamk_f16 v65, v62, 0xbbad, v64
	v_add_f16_e32 v43, v48, v43
	v_add_f16_e32 v40, v56, v40
	v_lshrrev_b32_e32 v48, 16, v18
	v_mul_f16_e32 v56, 0x3853, v63
	v_mul_f16_e32 v62, 0xba0c, v54
	v_bfi_b32 v47, 0xffff, v47, v46
	v_add_f16_e32 v40, v46, v40
	v_pk_mul_f16 v24, 0xbbad, v24 op_sel_hi:[0,1]
	v_fmamk_f16 v46, v48, 0x3abb, v56
	v_fma_f16 v64, v18, 0xb93d, -v62
	v_pk_add_f16 v47, v47, v52
	v_mul_f16_e32 v52, 0xb93d, v48
	v_fmac_f16_e32 v62, 0xb93d, v18
	v_add_f16_e32 v46, v46, v49
	v_add_f16_e32 v49, v64, v53
	v_mul_f16_e32 v53, 0x3b47, v54
	v_fmamk_f16 v54, v63, 0xba0c, v52
	v_mul_f16_e32 v64, 0x3b47, v63
	v_fma_f16 v56, v48, 0x3abb, -v56
	v_add_f16_e32 v50, v62, v50
	v_pk_fma_f16 v62, 0xb482, v38, v24 op_sel:[0,0,1] op_sel_hi:[0,1,0] neg_lo:[0,1,0] neg_hi:[0,1,0]
	v_add_f16_e32 v51, v54, v51
	v_fmamk_f16 v54, v48, 0x36a6, v64
	v_fma_f16 v48, v48, 0x36a6, -v64
	v_pk_mul_f16 v12, 0x3abb, v12 op_sel_hi:[0,1]
	v_pk_fma_f16 v24, 0xb482, v38, v24 op_sel:[0,0,1] op_sel_hi:[0,1,0]
	v_pk_mul_f16 v14, 0xb93d, v14 op_sel_hi:[0,1]
	v_pk_mul_f16 v16, 0x36a6, v16 op_sel_hi:[0,1]
	v_add_f16_e32 v41, v48, v41
	v_alignbit_b32 v48, s0, v62, 16
	v_pk_fma_f16 v38, 0x3853, v37, v12 op_sel:[0,0,1] op_sel_hi:[0,1,0] neg_lo:[0,1,0] neg_hi:[0,1,0]
	v_pk_fma_f16 v12, 0x3853, v37, v12 op_sel:[0,0,1] op_sel_hi:[0,1,0]
	v_pk_fma_f16 v37, 0xba0c, v59, v14 op_sel:[0,0,1] op_sel_hi:[0,1,0] neg_lo:[0,1,0] neg_hi:[0,1,0]
	v_pk_fma_f16 v14, 0xba0c, v59, v14 op_sel:[0,0,1] op_sel_hi:[0,1,0]
	v_pk_add_f16 v48, v8, v48
	v_pk_add_f16 v8, v8, v24 op_sel:[1,0] op_sel_hi:[0,1]
	v_alignbit_b32 v24, s0, v38, 16
	v_pk_add_f16 v39, v39, v62
	v_add_f16_e32 v22, v65, v22
	v_fma_f16 v65, v18, 0x36a6, -v53
	v_pk_add_f16 v8, v12, v8
	v_pk_add_f16 v24, v24, v48
	v_alignbit_b32 v12, s0, v37, 16
	v_pk_fma_f16 v48, 0x3b47, v60, v16 op_sel:[0,0,1] op_sel_hi:[0,1,0] neg_lo:[0,1,0] neg_hi:[0,1,0]
	v_fmac_f16_e32 v53, 0x36a6, v18
	v_pk_add_f16 v8, v14, v8
	v_pk_add_f16 v38, v38, v39
	;; [unrolled: 1-line block ×3, first 2 shown]
	v_alignbit_b32 v14, s0, v48, 16
	v_pk_fma_f16 v16, 0x3b47, v60, v16 op_sel:[0,0,1] op_sel_hi:[0,1,0]
	v_pk_mul_f16 v18, 0xb08e, v18 op_sel_hi:[0,1]
	v_pk_mul_f16 v57, 0x3853b482, v63
	v_add_f16_e32 v44, v56, v44
	v_mul_f16_e32 v56, 0xba0c, v63
	v_add_f16_e32 v28, v65, v28
	v_add_f16_e32 v22, v54, v22
	v_pk_add_f16 v12, v14, v12
	v_lshlrev_b32_e32 v14, 16, v42
	v_pk_add_f16 v24, v37, v38
	v_pk_add_f16 v8, v16, v8
	v_pk_fma_f16 v16, 0xbbeb, v63, v18 op_sel:[0,0,1] op_sel_hi:[0,1,0] neg_lo:[0,1,0] neg_hi:[0,1,0]
	v_pack_b32_f16 v22, v28, v22
	v_pack_b32_f16 v28, v58, v55
	v_bfi_b32 v37, 0xffff, v45, v57
	v_pk_add_f16 v38, v52, v56 neg_lo:[0,1] neg_hi:[0,1]
	v_pk_add_f16 v14, v61, v14
	v_pk_fma_f16 v18, 0xbbeb, v63, v18 op_sel:[0,0,1] op_sel_hi:[0,1,0]
	v_pk_add_f16 v24, v48, v24
	v_alignbit_b32 v39, s0, v16, 16
	v_add_f16_e32 v26, v53, v26
	v_pk_add_f16 v28, v28, v37
	v_bfi_b32 v14, 0xffff, v38, v14
	v_pk_add_f16 v8, v18, v8
	v_pk_add_f16 v16, v16, v24
	;; [unrolled: 1-line block ×3, first 2 shown]
	v_pack_b32_f16 v18, v26, v41
	v_pk_add_f16 v14, v14, v28
	v_alignbit_b32 v46, v46, v47, 16
	v_pack_b32_f16 v43, v43, v47
	v_pack_b32_f16 v24, v49, v51
	v_alignbit_b32 v16, v16, v8, 16
	v_pack_b32_f16 v8, v12, v8
	ds_store_2addr_b32 v30, v10, v18 offset1:7
	v_alignbit_b32 v10, v44, v14, 16
	v_pack_b32_f16 v12, v50, v14
	v_pack_b32_f16 v14, v20, v40
	ds_store_2addr_b32 v30, v43, v46 offset0:1 offset1:2
	ds_store_2addr_b32 v30, v24, v22 offset0:3 offset1:4
	;; [unrolled: 1-line block ×4, first 2 shown]
	ds_store_b32 v30, v14 offset:40
	v_cmpx_gt_u32_e32 63, v3
	s_cbranch_execz .LBB0_15
; %bb.14:
	v_pk_add_f16 v8, v9, v25
	v_pk_add_f16 v12, v11, v25
	v_pk_add_f16 v14, v25, v11 neg_lo:[0,1] neg_hi:[0,1]
	v_pk_add_f16 v16, v13, v27
	v_pk_add_f16 v18, v27, v13 neg_lo:[0,1] neg_hi:[0,1]
	v_pk_add_f16 v8, v8, v27
	v_pk_add_f16 v20, v15, v29
	v_pk_add_f16 v22, v29, v15 neg_lo:[0,1] neg_hi:[0,1]
	v_pk_add_f16 v24, v17, v23
	v_pk_add_f16 v25, v23, v17 neg_lo:[0,1] neg_hi:[0,1]
	v_pk_add_f16 v8, v8, v29
	v_lshrrev_b32_e32 v29, 16, v12
	v_lshrrev_b32_e32 v28, 16, v9
	v_mul_f16_e32 v37, 0x3beb, v18
	v_lshrrev_b32_e32 v38, 16, v16
	v_pk_add_f16 v8, v8, v23
	v_mul_f16_e32 v23, 0xba0c, v14
	v_pk_add_f16 v26, v19, v21
	v_pk_add_f16 v27, v21, v19 neg_lo:[0,1] neg_hi:[0,1]
	v_lshrrev_b32_e32 v39, 16, v20
	v_pk_add_f16 v8, v8, v21
	v_fmamk_f16 v41, v29, 0xb93d, v23
	v_mul_f16_e32 v21, 0xb853, v22
	v_fmamk_f16 v43, v38, 0xb08e, v37
	v_mul_f16_e32 v40, 0xb482, v25
	v_pk_add_f16 v8, v8, v19
	v_add_f16_e32 v41, v28, v41
	v_lshrrev_b32_e32 v19, 16, v24
	v_fmamk_f16 v45, v39, 0x3abb, v21
	v_lshrrev_b32_e32 v47, 16, v22
	v_pk_add_f16 v8, v8, v17
	v_lshrrev_b32_e32 v17, 16, v14
	v_add_f16_e32 v41, v43, v41
	v_lshrrev_b32_e32 v43, 16, v18
	v_fmamk_f16 v46, v19, 0xbbad, v40
	v_pk_add_f16 v8, v8, v15
	v_mul_f16_e32 v15, 0xba0c, v17
	v_add_f16_e32 v41, v45, v41
	v_mul_f16_e32 v45, 0x3beb, v43
	v_mul_f16_e32 v42, 0x3b47, v27
	v_pk_add_f16 v8, v8, v13
	v_fma_f16 v13, v12, 0xb93d, -v15
	v_lshrrev_b32_e32 v44, 16, v26
	v_add_f16_e32 v41, v46, v41
	v_mul_f16_e32 v46, 0xb853, v47
	v_pk_add_f16 v8, v8, v11
	v_add_f16_e32 v11, v9, v13
	v_fma_f16 v13, v16, 0xb08e, -v45
	v_lshrrev_b32_e32 v48, 16, v25
	v_fmamk_f16 v49, v44, 0x36a6, v42
	v_mul_f16_e32 v50, 0xbbeb, v14
	v_mul_f16_e32 v52, 0x3482, v18
	v_add_f16_e32 v11, v13, v11
	v_fma_f16 v13, v20, 0x3abb, -v46
	v_mul_f16_e32 v51, 0xb482, v48
	v_add_f16_e32 v41, v49, v41
	v_fmamk_f16 v49, v29, 0xb08e, v50
	v_lshrrev_b32_e32 v53, 16, v27
	v_add_f16_e32 v11, v13, v11
	v_fma_f16 v13, v24, 0xbbad, -v51
	v_fmamk_f16 v54, v38, 0xbbad, v52
	v_add_f16_e32 v49, v28, v49
	v_mul_f16_e32 v55, 0x3b47, v22
	v_mul_f16_e32 v56, 0x3b47, v53
	v_add_f16_e32 v11, v13, v11
	v_mul_f16_e32 v13, 0xbbeb, v17
	v_add_f16_e32 v49, v54, v49
	v_fmamk_f16 v54, v39, 0x36a6, v55
	v_mul_f16_e32 v57, 0xb853, v25
	v_mul_f16_e32 v59, 0x3482, v43
	v_fma_f16 v58, v12, 0xb08e, -v13
	v_fma_f16 v60, v26, 0x36a6, -v56
	v_add_f16_e32 v49, v54, v49
	v_fmamk_f16 v54, v19, 0x3abb, v57
	v_fma_f16 v61, v16, 0xbbad, -v59
	v_add_f16_e32 v58, v9, v58
	v_mul_f16_e32 v62, 0x3b47, v47
	v_add_f16_e32 v11, v60, v11
	v_mul_f16_e32 v60, 0xb93d, v44
	v_add_f16_e32 v49, v54, v49
	v_add_f16_e32 v54, v61, v58
	v_fma_f16 v58, v20, 0x36a6, -v62
	v_mul_f16_e32 v61, 0xb853, v48
	v_fmamk_f16 v63, v27, 0xba0c, v60
	v_mul_f16_e32 v65, 0xbb47, v14
	v_mul_f16_e32 v67, 0xba0c, v18
	v_add_f16_e32 v54, v58, v54
	v_fma_f16 v58, v24, 0x3abb, -v61
	v_add_f16_e32 v49, v63, v49
	v_mul_f16_e32 v63, 0xba0c, v53
	v_fmamk_f16 v66, v29, 0x36a6, v65
	v_fmamk_f16 v69, v38, 0xb93d, v67
	v_add_f16_e32 v54, v58, v54
	v_pk_mul_f16 v58, 0x3abb36a6, v12
	v_fma_f16 v68, v26, 0xb93d, -v63
	v_add_f16_e32 v66, v28, v66
	v_mul_f16_e32 v70, 0x3482, v22
	v_pk_mul_f16 v72, 0x36a6b93d, v16
	v_pk_fma_f16 v71, 0xbb47b853, v14, v58 op_sel:[0,0,1] op_sel_hi:[1,1,0]
	v_pk_fma_f16 v58, 0xbb47b853, v14, v58 op_sel:[0,0,1] op_sel_hi:[1,1,0] neg_lo:[0,1,0] neg_hi:[0,1,0]
	v_add_f16_e32 v54, v68, v54
	v_add_f16_e32 v66, v69, v66
	v_fmamk_f16 v68, v39, 0xbbad, v70
	v_pk_fma_f16 v73, 0xba0cbb47, v18, v72 op_sel:[0,0,1] op_sel_hi:[1,1,0]
	v_bfi_b32 v69, 0xffff, v71, v58
	v_pk_fma_f16 v72, 0xba0cbb47, v18, v72 op_sel:[0,0,1] op_sel_hi:[1,1,0] neg_lo:[0,1,0] neg_hi:[0,1,0]
	v_pk_mul_f16 v74, 0xb08ebbad, v20
	v_add_f16_e32 v66, v68, v66
	v_mul_f16_e32 v68, 0x3beb, v25
	v_pk_add_f16 v69, v9, v69 op_sel:[1,0] op_sel_hi:[0,1]
	v_bfi_b32 v75, 0xffff, v73, v72
	v_pk_fma_f16 v76, 0x3482bbeb, v22, v74 op_sel:[0,0,1] op_sel_hi:[1,1,0]
	v_pk_fma_f16 v74, 0x3482bbeb, v22, v74 op_sel:[0,0,1] op_sel_hi:[1,1,0] neg_lo:[0,1,0] neg_hi:[0,1,0]
	v_pk_mul_f16 v77, 0xb93db08e, v24
	v_fmamk_f16 v78, v19, 0xb08e, v68
	v_mul_f16_e32 v79, 0x3853, v27
	v_pk_add_f16 v69, v75, v69
	v_bfi_b32 v75, 0xffff, v76, v74
	v_pk_fma_f16 v80, 0x3bebba0c, v25, v77 op_sel:[0,0,1] op_sel_hi:[1,1,0]
	v_pk_fma_f16 v77, 0x3bebba0c, v25, v77 op_sel:[0,0,1] op_sel_hi:[1,1,0] neg_lo:[0,1,0] neg_hi:[0,1,0]
	v_add_f16_e32 v66, v78, v66
	v_fmamk_f16 v78, v44, 0x3abb, v79
	v_mul_f16_e32 v17, 0xb853, v17
	v_pk_add_f16 v69, v75, v69
	v_bfi_b32 v75, 0xffff, v80, v77
	v_pk_mul_f16 v81, 0xbbad3abb, v26
	v_add_f16_e32 v66, v78, v66
	v_fma_f16 v78, v12, 0x3abb, -v17
	v_mul_f16_e32 v43, 0xbb47, v43
	v_fma_f16 v23, v29, 0xb93d, -v23
	v_pk_add_f16 v69, v75, v69
	v_pk_fma_f16 v75, 0x3853b482, v27, v81 op_sel:[0,0,1] op_sel_hi:[1,1,0]
	v_pk_fma_f16 v82, 0x3853b482, v27, v81 op_sel:[0,0,1] op_sel_hi:[1,1,0] neg_lo:[0,1,0] neg_hi:[0,1,0]
	v_add_f16_e32 v78, v9, v78
	v_fma_f16 v83, v16, 0x36a6, -v43
	v_mul_f16_e32 v47, 0xbbeb, v47
	v_add_f16_e32 v23, v28, v23
	v_fma_f16 v37, v38, 0xb08e, -v37
	v_bfi_b32 v75, 0xffff, v75, v82
	v_add_f16_e32 v78, v83, v78
	v_fma_f16 v83, v20, 0xb08e, -v47
	v_mul_f16_e32 v48, 0xba0c, v48
	v_add_f16_e32 v23, v37, v23
	v_fma_f16 v21, v39, 0x3abb, -v21
	v_pk_add_f16 v69, v75, v69
	v_add_f16_e32 v75, v83, v78
	v_fma_f16 v37, v24, 0xb93d, -v48
	v_mul_f16_e32 v53, 0xb482, v53
	v_add_f16_e32 v21, v21, v23
	v_fma_f16 v23, v19, 0xbbad, -v40
	v_fmac_f16_e32 v15, 0xb93d, v12
	v_add_f16_e32 v37, v37, v75
	v_fma_f16 v40, v26, 0xbbad, -v53
	v_fmac_f16_e32 v13, 0xb08e, v12
	v_add_f16_e32 v21, v23, v21
	v_fma_f16 v23, v44, 0x36a6, -v42
	v_fma_f16 v42, v29, 0xb08e, -v50
	;; [unrolled: 1-line block ×3, first 2 shown]
	v_add_f16_e32 v37, v40, v37
	v_fma_f16 v40, v38, 0xbbad, -v52
	v_fma_f16 v38, v38, 0xb93d, -v67
	v_add_f16_e32 v21, v23, v21
	v_add_f16_e32 v29, v28, v29
	;; [unrolled: 1-line block ×3, first 2 shown]
	v_fmac_f16_e32 v17, 0x3abb, v12
	v_pk_mul_f16 v12, 0xbbad, v12 op_sel_hi:[0,1]
	v_fmac_f16_e32 v45, 0xb08e, v16
	v_add_f16_e32 v29, v38, v29
	v_fma_f16 v38, v39, 0xbbad, -v70
	v_add_f16_e32 v23, v40, v23
	v_fma_f16 v40, v39, 0x36a6, -v55
	v_fma_f16 v39, v44, 0x3abb, -v79
	v_fmac_f16_e32 v59, 0xbbad, v16
	v_add_f16_e32 v29, v38, v29
	v_fma_f16 v38, v19, 0xb08e, -v68
	v_add_f16_e32 v23, v40, v23
	v_alignbit_b32 v40, s0, v73, 16
	v_fmac_f16_e32 v43, 0x36a6, v16
	v_pk_fma_f16 v42, 0xb482, v14, v12 op_sel:[0,0,1] op_sel_hi:[0,1,0] neg_lo:[0,1,0] neg_hi:[0,1,0]
	v_add_f16_e32 v29, v38, v29
	v_alignbit_b32 v38, s0, v71, 16
	v_pk_mul_f16 v16, 0x3abb, v16 op_sel_hi:[0,1]
	v_pk_fma_f16 v12, 0xb482, v14, v12 op_sel:[0,0,1] op_sel_hi:[0,1,0]
	v_fmac_f16_e32 v46, 0x3abb, v20
	v_add_f16_e32 v29, v39, v29
	v_pk_add_f16 v38, v9, v38
	v_alignbit_b32 v39, s0, v76, 16
	v_fmac_f16_e32 v62, 0x36a6, v20
	v_add_f16_e32 v17, v9, v17
	v_fmac_f16_e32 v47, 0xb08e, v20
	v_pk_add_f16 v38, v40, v38
	v_alignbit_b32 v40, s0, v9, 16
	v_pk_mul_f16 v20, 0xb93d, v20 op_sel_hi:[0,1]
	v_pk_add_f16 v12, v9, v12 op_sel:[1,0] op_sel_hi:[0,1]
	v_add_f16_e32 v15, v9, v15
	v_pk_add_f16 v38, v39, v38
	v_pk_add_f16 v39, v40, v42
	v_pk_fma_f16 v40, 0x3853, v18, v16 op_sel:[0,0,1] op_sel_hi:[0,1,0] neg_lo:[0,1,0] neg_hi:[0,1,0]
	v_pk_fma_f16 v16, 0x3853, v18, v16 op_sel:[0,0,1] op_sel_hi:[0,1,0]
	v_alignbit_b32 v18, s0, v42, 16
	v_fmac_f16_e32 v51, 0xbbad, v24
	v_add_f16_e32 v13, v9, v13
	v_fmac_f16_e32 v61, 0x3abb, v24
	v_add_f16_e32 v17, v43, v17
	v_fmac_f16_e32 v48, 0xb93d, v24
	v_pk_fma_f16 v43, 0xba0c, v22, v20 op_sel:[0,0,1] op_sel_hi:[0,1,0] neg_lo:[0,1,0] neg_hi:[0,1,0]
	v_pk_mul_f16 v24, 0x36a6, v24 op_sel_hi:[0,1]
	v_pk_add_f16 v12, v16, v12
	v_pk_fma_f16 v16, 0xba0c, v22, v20 op_sel:[0,0,1] op_sel_hi:[0,1,0]
	v_pk_add_f16 v9, v9, v18
	v_alignbit_b32 v18, s0, v40, 16
	v_add_f16_e32 v15, v45, v15
	v_pk_add_f16 v39, v40, v39
	v_add_f16_e32 v28, v28, v58
	v_pk_fma_f16 v20, 0x3b47, v25, v24 op_sel:[0,0,1] op_sel_hi:[0,1,0] neg_lo:[0,1,0] neg_hi:[0,1,0]
	v_pk_mul_f16 v22, 0xb08e, v26 op_sel_hi:[0,1]
	v_pk_add_f16 v12, v16, v12
	v_pk_fma_f16 v16, 0x3b47, v25, v24 op_sel:[0,0,1] op_sel_hi:[0,1,0]
	v_pk_add_f16 v9, v18, v9
	v_alignbit_b32 v18, s0, v43, 16
	v_mul_f16_e32 v64, 0xba0c, v27
	v_pk_mul_f16 v84, 0x3853b482, v27
	v_add_f16_e32 v15, v46, v15
	v_fmac_f16_e32 v56, 0x36a6, v26
	v_add_f16_e32 v13, v59, v13
	v_fma_f16 v19, v19, 0x3abb, -v57
	v_fmac_f16_e32 v63, 0xb93d, v26
	v_fmac_f16_e32 v53, 0xbbad, v26
	v_pk_add_f16 v39, v43, v39
	v_lshlrev_b32_e32 v26, 16, v38
	v_add_f16_e32 v28, v72, v28
	v_pk_fma_f16 v25, 0xbbeb, v27, v22 op_sel:[0,0,1] op_sel_hi:[0,1,0] neg_lo:[0,1,0] neg_hi:[0,1,0]
	v_pk_add_f16 v12, v16, v12
	v_pk_add_f16 v9, v18, v9
	v_alignbit_b32 v16, s0, v20, 16
	v_add_f16_e32 v15, v51, v15
	v_add_f16_e32 v13, v62, v13
	v_pk_add_f16 v24, v20, v39
	v_pk_add_f16 v18, v60, v64 neg_lo:[0,1] neg_hi:[0,1]
	v_pk_add_f16 v20, v80, v26
	v_pack_b32_f16 v19, v19, v81
	v_bfi_b32 v23, 0xffff, v23, v84
	v_add_f16_e32 v28, v74, v28
	v_add_f16_e32 v17, v47, v17
	v_pk_fma_f16 v22, 0xbbeb, v27, v22 op_sel:[0,0,1] op_sel_hi:[0,1,0]
	v_pk_add_f16 v9, v16, v9
	v_alignbit_b32 v16, s0, v25, 16
	v_add_f16_e32 v15, v56, v15
	v_add_f16_e32 v13, v61, v13
	v_bfi_b32 v18, 0xffff, v18, v20
	v_pk_add_f16 v19, v19, v23
	v_add_f16_e32 v28, v77, v28
	v_add_f16_e32 v17, v48, v17
	v_pk_add_f16 v20, v25, v24
	v_pk_add_f16 v12, v22, v12
	;; [unrolled: 1-line block ×3, first 2 shown]
	v_mad_i32_i24 v10, v7, 44, 0
	v_add_f16_e32 v13, v63, v13
	v_pack_b32_f16 v15, v15, v21
	v_pk_add_f16 v16, v18, v19
	v_add_f16_e32 v28, v82, v28
	v_add_f16_e32 v17, v53, v17
	v_alignbit_b32 v14, v66, v69, 16
	v_pack_b32_f16 v37, v37, v69
	v_pack_b32_f16 v11, v11, v41
	;; [unrolled: 1-line block ×3, first 2 shown]
	v_alignbit_b32 v19, v20, v12, 16
	v_pack_b32_f16 v9, v9, v12
	ds_store_2addr_b32 v10, v8, v15 offset1:7
	v_alignbit_b32 v8, v29, v16, 16
	v_pack_b32_f16 v12, v13, v16
	v_pack_b32_f16 v13, v17, v28
	ds_store_2addr_b32 v10, v37, v14 offset0:1 offset1:2
	ds_store_2addr_b32 v10, v18, v11 offset0:3 offset1:4
	;; [unrolled: 1-line block ×4, first 2 shown]
	ds_store_b32 v10, v13 offset:40
.LBB0_15:
	s_wait_alu 0xfffe
	s_or_b32 exec_lo, exec_lo, s1
	v_add_nc_u32_e32 v18, 0x18c, v3
	v_and_b32_e32 v9, 0xff, v3
	v_add_nc_u32_e32 v19, 0x1ef, v3
	v_and_b32_e32 v23, 0xff, v7
	global_wb scope:SCOPE_SE
	s_wait_dscnt 0x0
	v_and_b32_e32 v10, 0xffff, v18
	v_mul_lo_u16 v8, 0x75, v9
	v_and_b32_e32 v11, 0xffff, v19
	v_mul_lo_u16 v14, 0x75, v23
	s_barrier_signal -1
	v_mul_u32_u24_e32 v12, 0xba2f, v10
	v_lshrrev_b16 v8, 8, v8
	v_mul_u32_u24_e32 v13, 0xba2f, v11
	v_lshrrev_b16 v14, 8, v14
	s_barrier_wait -1
	v_lshrrev_b32_e32 v29, 19, v12
	v_sub_nc_u16 v12, v3, v8
	v_lshrrev_b32_e32 v63, 19, v13
	v_sub_nc_u16 v16, v7, v14
	global_inv scope:SCOPE_SE
	v_mul_lo_u16 v13, v29, 11
	v_lshrrev_b16 v12, 1, v12
	v_mul_lo_u16 v15, v63, 11
	v_add_nc_u32_e32 v20, 0x129, v3
	ds_load_2addr_b32 v[49:50], v33 offset0:65 offset1:164
	v_sub_nc_u16 v13, v18, v13
	v_and_b32_e32 v12, 0x7f, v12
	v_sub_nc_u16 v15, v19, v15
	v_and_b32_e32 v22, 0xffff, v20
	v_mul_lo_u16 v9, 0xf9, v9
	v_and_b32_e32 v64, 0xffff, v13
	v_add_nc_u16 v8, v12, v8
	v_lshrrev_b16 v13, 1, v16
	v_and_b32_e32 v65, 0xffff, v15
	v_add_nc_u32_e32 v12, 0xc6, v3
	v_lshlrev_b32_e32 v15, 3, v64
	v_lshrrev_b16 v66, 3, v8
	v_and_b32_e32 v8, 0x7f, v13
	v_lshlrev_b32_e32 v13, 3, v65
	v_and_b32_e32 v21, 0xffff, v12
	global_load_b64 v[37:38], v15, s[8:9]
	v_mul_u32_u24_e32 v25, 0xf83f, v22
	v_add_nc_u16 v8, v8, v14
	global_load_b64 v[39:40], v13, s[8:9]
	v_mul_lo_u16 v15, v66, 11
	s_wait_dscnt 0x0
	v_lshrrev_b32_e32 v85, 16, v49
	v_lshrrev_b32_e32 v86, 16, v50
	v_lshrrev_b16 v67, 3, v8
	v_mul_u32_u24_e32 v8, 0xba2f, v21
	v_sub_nc_u16 v13, v3, v15
	v_add_nc_u32_e32 v15, 0xa00, v0
	v_mul_lo_u16 v24, 0xf9, v23
	v_lshrrev_b16 v23, 13, v9
	v_lshrrev_b32_e32 v69, 19, v8
	v_and_b32_e32 v68, 0xff, v13
	v_mul_lo_u16 v13, v67, 11
	v_mul_u32_u24_e32 v9, 0xf83f, v21
	v_mul_u32_u24_e32 v28, 0xf83f, v10
	v_mul_lo_u16 v14, v69, 11
	v_lshlrev_b32_e32 v8, 3, v68
	v_sub_nc_u16 v13, v7, v13
	v_mul_u32_u24_e32 v77, 0xf83f, v11
	v_lshrrev_b32_e32 v27, 21, v25
	v_lshrrev_b32_e32 v26, 21, v9
	global_load_b64 v[41:42], v8, s[8:9]
	v_and_b32_e32 v70, 0xff, v13
	v_lshrrev_b32_e32 v28, 21, v28
	v_lshrrev_b32_e32 v25, 21, v77
	v_and_b32_e32 v66, 0xffff, v66
	v_mul_lo_u16 v89, v26, 33
	v_lshlrev_b32_e32 v13, 3, v70
	v_lshlrev_b32_e32 v68, 2, v68
	v_and_b32_e32 v67, 0xffff, v67
	v_mul_u32_u24_e32 v66, 0x84, v66
	v_mul_u32_u24_e32 v69, 0x84, v69
	global_load_b64 v[43:44], v13, s[8:9]
	v_sub_nc_u16 v8, v12, v14
	v_mad_i32_i24 v14, 0xffffffd8, v3, v30
	v_lshl_add_u32 v13, v7, 2, 0
	v_mul_u32_u24_e32 v67, 0x84, v67
	v_lshrrev_b16 v24, 13, v24
	v_and_b32_e32 v71, 0xffff, v8
	v_add_nc_u32_e32 v17, 0x200, v14
	v_add_nc_u32_e32 v16, 0x400, v14
	v_mul_lo_u16 v78, v23, 33
	v_mul_lo_u16 v79, v24, 33
	v_lshlrev_b32_e32 v8, 3, v71
	v_mul_u32_u24_e32 v29, 0x84, v29
	v_lshlrev_b32_e32 v64, 2, v64
	v_sub_nc_u16 v78, v3, v78
	v_sub_nc_u16 v79, v7, v79
	global_load_b64 v[45:46], v8, s[8:9]
	v_mul_u32_u24_e32 v8, 0xba2f, v22
	v_mul_u32_u24_e32 v63, 0x84, v63
	v_and_b32_e32 v78, 0xff, v78
	v_and_b32_e32 v79, 0xff, v79
	v_lshlrev_b32_e32 v65, 2, v65
	v_lshrrev_b32_e32 v72, 19, v8
	v_add3_u32 v29, 0, v29, v64
	v_lshlrev_b32_e32 v64, 3, v78
	v_and_b32_e32 v23, 0xffff, v23
	v_add3_u32 v63, 0, v63, v65
	v_mul_lo_u16 v8, v72, 11
	v_mul_u32_u24_e32 v72, 0x84, v72
	v_lshlrev_b32_e32 v65, 3, v79
	v_and_b32_e32 v24, 0xffff, v24
	v_mul_u32_u24_e32 v23, 0x18c, v23
	v_sub_nc_u16 v8, v20, v8
	s_delay_alu instid0(VALU_DEP_3) | instskip(NEXT) | instid1(VALU_DEP_2)
	v_mul_u32_u24_e32 v24, 0x18c, v24
	v_and_b32_e32 v73, 0xffff, v8
	s_delay_alu instid0(VALU_DEP_1)
	v_lshlrev_b32_e32 v8, 3, v73
	v_lshlrev_b32_e32 v73, 2, v73
	global_load_b64 v[47:48], v8, s[8:9]
	ds_load_b32 v8, v0
	ds_load_2addr_b32 v[51:52], v34 offset0:7 offset1:106
	ds_load_2addr_b32 v[53:54], v32 offset0:123 offset1:222
	;; [unrolled: 1-line block ×4, first 2 shown]
	ds_load_b32 v74, v14 offset:2376
	ds_load_b32 v75, v13
	ds_load_b32 v76, v0 offset:6732
	ds_load_2addr_b32 v[59:60], v17 offset0:70 offset1:169
	ds_load_2addr_b32 v[61:62], v16 offset0:140 offset1:239
	v_add3_u32 v72, 0, v72, v73
	global_wb scope:SCOPE_SE
	s_wait_loadcnt_dscnt 0x0
	s_barrier_signal -1
	s_barrier_wait -1
	global_inv scope:SCOPE_SE
	v_lshrrev_b32_e32 v77, 16, v51
	v_lshrrev_b32_e32 v83, 16, v54
	;; [unrolled: 1-line block ×12, first 2 shown]
	s_delay_alu instid0(VALU_DEP_3) | instskip(NEXT) | instid1(VALU_DEP_3)
	v_mul_f16_e32 v91, v54, v87
	v_mul_f16_e32 v93, v56, v88
	;; [unrolled: 1-line block ×4, first 2 shown]
	s_delay_alu instid0(VALU_DEP_4)
	v_fmac_f16_e32 v91, v83, v37
	v_lshrrev_b32_e32 v83, 16, v40
	v_fmac_f16_e32 v93, v84, v38
	v_mul_f16_e32 v84, v49, v92
	v_fma_f16 v38, v56, v38, -v88
	v_fma_f16 v37, v54, v37, -v87
	v_mul_f16_e32 v56, v90, v83
	v_lshrrev_b32_e32 v54, 16, v74
	v_mul_f16_e32 v87, v85, v92
	v_mul_f16_e32 v83, v76, v83
	v_fmac_f16_e32 v84, v85, v39
	v_fma_f16 v56, v76, v40, -v56
	s_delay_alu instid0(VALU_DEP_4) | instskip(SKIP_4) | instid1(VALU_DEP_4)
	v_fma_f16 v39, v49, v39, -v87
	v_lshrrev_b32_e32 v85, 16, v42
	v_lshrrev_b32_e32 v76, 16, v41
	v_fmac_f16_e32 v83, v90, v40
	v_mul_lo_u16 v49, v27, 33
	v_mul_f16_e32 v40, v85, v86
	s_delay_alu instid0(VALU_DEP_4)
	v_mul_f16_e32 v87, v76, v54
	v_mul_f16_e32 v76, v76, v74
	;; [unrolled: 1-line block ×3, first 2 shown]
	v_sub_nc_u16 v49, v20, v49
	v_fma_f16 v40, v42, v50, -v40
	v_lshrrev_b32_e32 v88, 16, v43
	v_fma_f16 v74, v41, v74, -v87
	v_lshrrev_b32_e32 v87, 16, v44
	v_fmac_f16_e32 v76, v41, v54
	v_lshrrev_b32_e32 v41, 16, v57
	v_fmac_f16_e32 v85, v42, v86
	v_mul_f16_e32 v42, v88, v57
	v_mul_f16_e32 v86, v51, v87
	;; [unrolled: 1-line block ×4, first 2 shown]
	v_lshrrev_b32_e32 v50, 16, v58
	v_fmac_f16_e32 v42, v43, v41
	v_mul_lo_u16 v41, v28, 33
	v_fmac_f16_e32 v86, v77, v44
	v_fma_f16 v43, v43, v57, -v88
	v_fma_f16 v44, v51, v44, -v87
	v_lshrrev_b32_e32 v54, 16, v45
	v_lshrrev_b32_e32 v57, 16, v46
	v_sub_nc_u16 v87, v12, v89
	v_sub_nc_u16 v89, v18, v41
	v_lshlrev_b32_e32 v41, 2, v71
	v_and_b32_e32 v90, 0xffff, v49
	v_add3_u32 v49, 0, v66, v68
	v_lshlrev_b32_e32 v68, 2, v70
	v_mul_f16_e32 v77, v50, v54
	v_mul_f16_e32 v54, v58, v54
	;; [unrolled: 1-line block ×4, first 2 shown]
	v_add3_u32 v41, 0, v69, v41
	v_lshrrev_b32_e32 v69, 16, v61
	v_add3_u32 v67, 0, v67, v68
	v_add_f16_e32 v68, v61, v37
	v_add_f16_e32 v70, v91, v93
	v_fma_f16 v58, v58, v45, -v77
	v_fma_f16 v52, v52, v46, -v88
	v_fmac_f16_e32 v54, v50, v45
	v_add_f16_e32 v45, v37, v38
	v_fmac_f16_e32 v57, v80, v46
	v_sub_f16_e32 v46, v91, v93
	v_add_f16_e32 v50, v69, v91
	v_sub_f16_e32 v37, v37, v38
	v_add_f16_e32 v80, v62, v39
	v_add_f16_e32 v38, v68, v38
	v_add_f16_e32 v68, v39, v56
	v_sub_f16_e32 v91, v84, v83
	v_fmac_f16_e32 v69, -0.5, v70
	v_add_f16_e32 v70, v73, v84
	v_add_f16_e32 v84, v84, v83
	v_sub_f16_e32 v39, v39, v56
	v_add_f16_e32 v56, v80, v56
	v_lshrrev_b32_e32 v80, 16, v47
	v_fmac_f16_e32 v62, -0.5, v68
	v_lshrrev_b32_e32 v68, 16, v48
	v_fma_f16 v45, -0.5, v45, v61
	v_fmac_f16_e32 v73, -0.5, v84
	v_add_f16_e32 v61, v70, v83
	v_mul_f16_e32 v70, v81, v80
	v_mul_f16_e32 v80, v53, v80
	v_fmamk_f16 v83, v46, 0x3aee, v45
	v_fmac_f16_e32 v45, 0xbaee, v46
	v_fmamk_f16 v46, v37, 0xbaee, v69
	v_fmac_f16_e32 v69, 0x3aee, v37
	;; [unrolled: 2-line block ×4, first 2 shown]
	v_mul_f16_e32 v39, v82, v68
	v_mul_f16_e32 v68, v55, v68
	v_lshrrev_b32_e32 v77, 16, v75
	v_add_f16_e32 v50, v50, v93
	v_lshrrev_b32_e32 v71, 16, v59
	v_lshrrev_b32_e32 v88, 16, v60
	v_fma_f16 v53, v53, v47, -v70
	v_fmac_f16_e32 v80, v81, v47
	v_fma_f16 v39, v55, v48, -v39
	v_fmac_f16_e32 v68, v82, v48
	v_pack_b32_f16 v47, v62, v73
	v_add_f16_e32 v48, v8, v74
	v_add_f16_e32 v55, v74, v40
	;; [unrolled: 1-line block ×3, first 2 shown]
	v_pack_b32_f16 v38, v38, v50
	v_pack_b32_f16 v50, v56, v61
	;; [unrolled: 1-line block ×3, first 2 shown]
	v_sub_f16_e32 v56, v76, v85
	v_add_f16_e32 v61, v9, v76
	v_sub_f16_e32 v69, v74, v40
	v_add_f16_e32 v73, v43, v44
	;; [unrolled: 2-line block ×3, first 2 shown]
	v_add_f16_e32 v42, v42, v86
	v_pack_b32_f16 v46, v83, v46
	v_pack_b32_f16 v37, v37, v84
	v_add_f16_e32 v81, v59, v58
	v_add_f16_e32 v82, v58, v52
	v_sub_f16_e32 v83, v54, v57
	v_add_f16_e32 v84, v71, v54
	v_add_f16_e32 v54, v54, v57
	;; [unrolled: 1-line block ×4, first 2 shown]
	v_sub_f16_e32 v93, v80, v68
	v_add_f16_e32 v40, v48, v40
	v_add_f16_e32 v48, v88, v80
	;; [unrolled: 1-line block ×3, first 2 shown]
	v_fmac_f16_e32 v8, -0.5, v55
	v_fmac_f16_e32 v9, -0.5, v62
	v_add_f16_e32 v70, v75, v43
	v_sub_f16_e32 v43, v43, v44
	v_fmac_f16_e32 v75, -0.5, v73
	v_fmac_f16_e32 v77, -0.5, v42
	v_sub_f16_e32 v58, v58, v52
	v_add_f16_e32 v42, v81, v52
	v_fma_f16 v52, -0.5, v82, v59
	v_fmac_f16_e32 v71, -0.5, v54
	v_sub_f16_e32 v53, v53, v39
	v_add_f16_e32 v55, v61, v85
	v_add_f16_e32 v39, v91, v39
	v_fmac_f16_e32 v60, -0.5, v92
	v_add_f16_e32 v48, v48, v68
	v_fmac_f16_e32 v88, -0.5, v80
	v_fmamk_f16 v54, v56, 0x3aee, v8
	v_fmac_f16_e32 v8, 0xbaee, v56
	v_fmamk_f16 v56, v69, 0xbaee, v9
	v_fmac_f16_e32 v9, 0x3aee, v69
	v_add_f16_e32 v44, v70, v44
	v_add_f16_e32 v61, v76, v86
	v_fmamk_f16 v59, v74, 0x3aee, v75
	v_fmamk_f16 v62, v43, 0xbaee, v77
	v_fmac_f16_e32 v75, 0xbaee, v74
	v_fmac_f16_e32 v77, 0x3aee, v43
	v_add_f16_e32 v57, v84, v57
	v_fmamk_f16 v43, v83, 0x3aee, v52
	v_fmamk_f16 v68, v58, 0xbaee, v71
	v_and_b32_e32 v87, 0xffff, v87
	v_fmac_f16_e32 v52, 0xbaee, v83
	v_fmac_f16_e32 v71, 0x3aee, v58
	v_fmamk_f16 v58, v93, 0x3aee, v60
	v_fmac_f16_e32 v60, 0xbaee, v93
	v_fmamk_f16 v69, v53, 0xbaee, v88
	v_fmac_f16_e32 v88, 0x3aee, v53
	v_pack_b32_f16 v40, v40, v55
	v_pack_b32_f16 v39, v39, v48
	v_pack_b32_f16 v48, v54, v56
	v_mul_lo_u16 v51, v25, 33
	v_pack_b32_f16 v8, v8, v9
	v_pack_b32_f16 v44, v44, v61
	;; [unrolled: 1-line block ×6, first 2 shown]
	v_lshlrev_b32_e32 v66, 3, v87
	v_pack_b32_f16 v52, v52, v71
	v_pack_b32_f16 v54, v58, v69
	;; [unrolled: 1-line block ×3, first 2 shown]
	ds_store_2addr_b32 v49, v40, v48 offset1:11
	ds_store_b32 v49, v8 offset:88
	ds_store_2addr_b32 v67, v44, v9 offset1:11
	ds_store_b32 v67, v53 offset:88
	;; [unrolled: 2-line block ×6, first 2 shown]
	global_wb scope:SCOPE_SE
	s_wait_dscnt 0x0
	s_barrier_signal -1
	s_barrier_wait -1
	global_inv scope:SCOPE_SE
	s_clause 0x1
	global_load_b64 v[37:38], v64, s[8:9] offset:88
	global_load_b64 v[39:40], v65, s[8:9] offset:88
	v_sub_nc_u16 v9, v19, v51
	v_lshlrev_b32_e32 v8, 3, v90
	global_load_b64 v[41:42], v66, s[8:9] offset:88
	v_and_b32_e32 v29, 0xffff, v89
	v_mul_u32_u24_e32 v52, 0xa57f, v11
	v_and_b32_e32 v51, 0xffff, v9
	global_load_b64 v[43:44], v8, s[8:9] offset:88
	v_lshlrev_b32_e32 v60, 2, v90
	v_lshlrev_b32_e32 v8, 3, v29
	v_mul_u32_u24_e32 v53, 0x18c, v28
	v_lshlrev_b32_e32 v9, 3, v51
	s_clause 0x1
	global_load_b64 v[45:46], v8, s[8:9] offset:88
	global_load_b64 v[47:48], v9, s[8:9] offset:88
	v_dual_mov_b32 v9, 0 :: v_dual_lshlrev_b32 v8, 1, v3
	v_mul_u32_u24_e32 v54, 0x18c, v25
	v_lshlrev_b32_e32 v61, 2, v29
	v_lshlrev_b32_e32 v51, 2, v51
	s_delay_alu instid0(VALU_DEP_4)
	v_lshlrev_b64_e32 v[49:50], 2, v[8:9]
	v_mul_u32_u24_e32 v8, 0xa57f, v21
	v_mul_u32_u24_e32 v21, 0xa57f, v22
	;; [unrolled: 1-line block ×3, first 2 shown]
	v_add3_u32 v51, 0, v54, v51
	v_add3_u32 v53, 0, v53, v61
	v_add_co_u32 v10, s0, s8, v49
	v_lshrrev_b32_e32 v8, 22, v8
	v_lshrrev_b32_e32 v21, 22, v21
	;; [unrolled: 1-line block ×4, first 2 shown]
	s_wait_alu 0xf1ff
	v_add_co_ci_u32_e64 v11, s0, s9, v50, s0
	v_mul_u32_u24_e32 v50, 0x18c, v26
	v_mul_lo_u16 v8, 0x63, v8
	v_mul_lo_u16 v21, 0x63, v21
	;; [unrolled: 1-line block ×4, first 2 shown]
	v_mul_u32_u24_e32 v52, 0x18c, v27
	v_sub_nc_u16 v8, v12, v8
	v_sub_nc_u16 v20, v20, v21
	;; [unrolled: 1-line block ×4, first 2 shown]
	v_lshlrev_b32_e32 v21, 2, v78
	v_lshlrev_b32_e32 v22, 2, v79
	v_and_b32_e32 v55, 0xffff, v8
	v_and_b32_e32 v56, 0xffff, v20
	;; [unrolled: 1-line block ×4, first 2 shown]
	v_add3_u32 v8, 0, v23, v21
	v_add3_u32 v59, 0, v24, v22
	ds_load_b32 v62, v0
	ds_load_b32 v63, v14 offset:2376
	ds_load_b32 v64, v13
	ds_load_2addr_b32 v[18:19], v17 offset0:70 offset1:169
	ds_load_2addr_b32 v[20:21], v15 offset0:53 offset1:152
	;; [unrolled: 1-line block ×3, first 2 shown]
	v_lshlrev_b32_e32 v49, 2, v87
	ds_load_2addr_b32 v[24:25], v32 offset0:123 offset1:222
	ds_load_2addr_b32 v[26:27], v35 offset0:77 offset1:176
	;; [unrolled: 1-line block ×3, first 2 shown]
	v_add3_u32 v52, 0, v52, v60
	v_lshlrev_b32_e32 v65, 3, v55
	v_lshlrev_b32_e32 v66, 3, v56
	v_add3_u32 v67, 0, v50, v49
	ds_load_2addr_b32 v[49:50], v33 offset0:65 offset1:164
	ds_load_b32 v60, v0 offset:6732
	global_wb scope:SCOPE_SE
	s_wait_loadcnt_dscnt 0x0
	s_barrier_signal -1
	s_barrier_wait -1
	global_inv scope:SCOPE_SE
	v_lshrrev_b32_e32 v54, 16, v62
	v_lshrrev_b32_e32 v80, 16, v63
	;; [unrolled: 1-line block ×24, first 2 shown]
	v_mul_f16_e32 v90, v85, v20
	v_mul_f16_e32 v92, v87, v22
	;; [unrolled: 1-line block ×4, first 2 shown]
	v_lshrrev_b32_e32 v91, 16, v43
	v_fmac_f16_e32 v90, v39, v82
	v_fmac_f16_e32 v92, v40, v83
	v_mul_f16_e32 v83, v69, v88
	v_fma_f16 v20, v39, v20, -v85
	v_fma_f16 v22, v40, v22, -v87
	v_mul_f16_e32 v40, v21, v88
	v_mul_f16_e32 v85, v70, v89
	v_lshrrev_b32_e32 v82, 16, v44
	v_mul_f16_e32 v88, v23, v89
	v_lshrrev_b32_e32 v39, 16, v45
	v_fma_f16 v21, v21, v41, -v83
	v_lshrrev_b32_e32 v83, 16, v46
	v_lshrrev_b32_e32 v87, 16, v47
	v_fma_f16 v23, v23, v42, -v85
	v_lshrrev_b32_e32 v85, 16, v48
	v_mul_f16_e32 v89, v84, v80
	v_mul_f16_e32 v84, v84, v63
	v_fmac_f16_e32 v40, v69, v41
	v_mul_f16_e32 v41, v86, v81
	v_mul_f16_e32 v69, v86, v50
	v_fmac_f16_e32 v88, v70, v42
	v_mul_f16_e32 v42, v72, v91
	v_mul_f16_e32 v70, v24, v91
	;; [unrolled: 1-line block ×6, first 2 shown]
	v_fma_f16 v63, v37, v63, -v89
	v_mul_f16_e32 v89, v76, v83
	v_mul_f16_e32 v83, v27, v83
	v_fmac_f16_e32 v84, v37, v80
	v_mul_f16_e32 v37, v78, v87
	v_mul_f16_e32 v80, v49, v87
	v_fmac_f16_e32 v69, v38, v81
	v_mul_f16_e32 v81, v79, v85
	v_mul_f16_e32 v85, v60, v85
	v_fma_f16 v38, v38, v50, -v41
	v_fma_f16 v24, v24, v43, -v42
	v_fmac_f16_e32 v70, v72, v43
	v_fma_f16 v26, v26, v44, -v86
	v_fmac_f16_e32 v82, v73, v44
	;; [unrolled: 2-line block ×6, first 2 shown]
	v_add_f16_e32 v42, v62, v63
	v_add_f16_e32 v43, v63, v38
	;; [unrolled: 1-line block ×4, first 2 shown]
	v_sub_f16_e32 v47, v63, v38
	v_add_f16_e32 v49, v20, v22
	v_add_f16_e32 v63, v90, v92
	v_sub_f16_e32 v44, v84, v69
	v_add_f16_e32 v73, v21, v23
	v_sub_f16_e32 v75, v40, v88
	v_add_f16_e32 v76, v68, v40
	v_add_f16_e32 v40, v40, v88
	;; [unrolled: 1-line block ×3, first 2 shown]
	v_sub_f16_e32 v81, v70, v82
	v_add_f16_e32 v84, v71, v70
	v_add_f16_e32 v70, v70, v82
	v_sub_f16_e32 v50, v90, v92
	v_add_f16_e32 v60, v61, v90
	v_add_f16_e32 v87, v25, v27
	;; [unrolled: 3-line block ×3, first 2 shown]
	v_add_f16_e32 v91, v29, v37
	v_add_f16_e32 v38, v42, v38
	;; [unrolled: 1-line block ×3, first 2 shown]
	v_fmac_f16_e32 v62, -0.5, v43
	v_sub_f16_e32 v43, v80, v85
	v_add_f16_e32 v45, v45, v69
	v_add_f16_e32 v69, v77, v80
	;; [unrolled: 1-line block ×3, first 2 shown]
	v_fmac_f16_e32 v54, -0.5, v46
	v_add_f16_e32 v78, v19, v24
	v_add_f16_e32 v48, v64, v20
	v_sub_f16_e32 v20, v20, v22
	v_fmac_f16_e32 v64, -0.5, v49
	v_fmac_f16_e32 v61, -0.5, v63
	v_add_f16_e32 v72, v18, v21
	v_sub_f16_e32 v21, v21, v23
	v_sub_f16_e32 v24, v24, v26
	v_fma_f16 v18, -0.5, v73, v18
	v_fmac_f16_e32 v68, -0.5, v40
	v_fmac_f16_e32 v19, -0.5, v79
	;; [unrolled: 1-line block ×3, first 2 shown]
	v_add_f16_e32 v86, v28, v25
	v_sub_f16_e32 v25, v25, v27
	v_sub_f16_e32 v37, v37, v41
	v_fma_f16 v28, -0.5, v87, v28
	v_fmac_f16_e32 v74, -0.5, v39
	v_add_f16_e32 v39, v91, v41
	v_fmac_f16_e32 v29, -0.5, v42
	v_add_f16_e32 v41, v69, v85
	v_fmac_f16_e32 v77, -0.5, v80
	v_fmamk_f16 v42, v44, 0x3aee, v62
	v_fmac_f16_e32 v62, 0xbaee, v44
	v_fmamk_f16 v44, v47, 0xbaee, v54
	v_add_f16_e32 v26, v78, v26
	v_add_f16_e32 v40, v84, v82
	v_fmac_f16_e32 v54, 0x3aee, v47
	v_add_f16_e32 v22, v48, v22
	v_add_f16_e32 v46, v60, v92
	v_fmamk_f16 v47, v50, 0x3aee, v64
	v_fmac_f16_e32 v64, 0xbaee, v50
	v_fmamk_f16 v50, v20, 0xbaee, v61
	v_fmac_f16_e32 v61, 0x3aee, v20
	v_add_f16_e32 v23, v72, v23
	v_add_f16_e32 v48, v76, v88
	v_fmamk_f16 v20, v75, 0x3aee, v18
	v_fmac_f16_e32 v18, 0xbaee, v75
	v_fmamk_f16 v60, v21, 0xbaee, v68
	v_fmac_f16_e32 v68, 0x3aee, v21
	;; [unrolled: 2-line block ×4, first 2 shown]
	v_add_f16_e32 v27, v86, v27
	v_add_f16_e32 v49, v90, v83
	v_fmamk_f16 v24, v89, 0x3aee, v28
	v_fmac_f16_e32 v28, 0xbaee, v89
	v_fmamk_f16 v69, v25, 0xbaee, v74
	v_fmac_f16_e32 v74, 0x3aee, v25
	;; [unrolled: 2-line block ×4, first 2 shown]
	v_pack_b32_f16 v37, v38, v45
	v_pack_b32_f16 v38, v39, v41
	;; [unrolled: 1-line block ×18, first 2 shown]
	ds_store_2addr_b32 v8, v37, v39 offset1:33
	ds_store_b32 v8, v40 offset:264
	ds_store_2addr_b32 v59, v22, v41 offset1:33
	ds_store_b32 v59, v42 offset:264
	;; [unrolled: 2-line block ×6, first 2 shown]
	global_wb scope:SCOPE_SE
	s_wait_dscnt 0x0
	s_barrier_signal -1
	s_barrier_wait -1
	global_inv scope:SCOPE_SE
	s_clause 0x1
	global_load_b64 v[18:19], v[10:11], off offset:352
	global_load_b64 v[20:21], v65, s[8:9] offset:352
	v_lshlrev_b32_e32 v8, 3, v57
	v_lshlrev_b32_e32 v26, 3, v58
	s_clause 0x2
	global_load_b64 v[22:23], v66, s[8:9] offset:352
	global_load_b64 v[24:25], v8, s[8:9] offset:352
	;; [unrolled: 1-line block ×3, first 2 shown]
	v_lshlrev_b32_e32 v8, 1, v7
	s_delay_alu instid0(VALU_DEP_1) | instskip(SKIP_4) | instid1(VALU_DEP_4)
	v_lshlrev_b64_e32 v[28:29], 2, v[8:9]
	v_lshlrev_b32_e32 v8, 1, v12
	v_lshl_add_u32 v12, v56, 2, 0
	v_lshl_add_u32 v56, v57, 2, 0
	;; [unrolled: 1-line block ×3, first 2 shown]
	v_lshlrev_b64_e32 v[37:38], 2, v[8:9]
	v_lshl_add_u32 v8, v55, 2, 0
	ds_load_b32 v53, v0
	ds_load_b32 v54, v14 offset:2376
	ds_load_b32 v55, v13
	ds_load_2addr_b32 v[39:40], v17 offset0:70 offset1:169
	ds_load_2addr_b32 v[41:42], v15 offset0:53 offset1:152
	;; [unrolled: 1-line block ×7, first 2 shown]
	ds_load_b32 v60, v0 offset:6732
	v_add_co_u32 v28, s0, s8, v28
	s_wait_alu 0xf1ff
	v_add_co_ci_u32_e64 v29, s0, s9, v29, s0
	v_add_co_u32 v37, s0, s8, v37
	s_wait_alu 0xf1ff
	v_add_co_ci_u32_e64 v38, s0, s9, v38, s0
	v_add_nc_u32_e32 v58, 0x800, v8
	v_add_nc_u32_e32 v59, 0xc00, v12
	v_add_nc_u32_e32 v61, 0x1200, v56
	v_add_nc_u32_e32 v62, 0x1600, v57
	s_wait_dscnt 0xa
	v_lshrrev_b32_e32 v63, 16, v53
	s_wait_dscnt 0x9
	v_lshrrev_b32_e32 v77, 16, v54
	;; [unrolled: 2-line block ×7, first 2 shown]
	v_lshrrev_b32_e32 v66, 16, v42
	v_lshrrev_b32_e32 v67, 16, v44
	;; [unrolled: 1-line block ×7, first 2 shown]
	s_wait_dscnt 0x0
	v_lshrrev_b32_e32 v76, 16, v60
	v_lshrrev_b32_e32 v71, 16, v49
	;; [unrolled: 1-line block ×4, first 2 shown]
	global_wb scope:SCOPE_SE
	s_wait_loadcnt 0x0
	s_barrier_signal -1
	s_barrier_wait -1
	global_inv scope:SCOPE_SE
	v_lshrrev_b32_e32 v81, 16, v18
	v_lshrrev_b32_e32 v82, 16, v19
	;; [unrolled: 1-line block ×5, first 2 shown]
	v_mul_f16_e32 v88, v81, v77
	v_mul_f16_e32 v91, v81, v54
	;; [unrolled: 1-line block ×4, first 2 shown]
	v_lshrrev_b32_e32 v86, 16, v23
	v_fma_f16 v54, v18, v54, -v88
	v_mul_f16_e32 v88, v82, v52
	v_fmac_f16_e32 v91, v18, v77
	v_mul_f16_e32 v77, v82, v43
	v_lshrrev_b32_e32 v87, 16, v24
	v_lshrrev_b32_e32 v89, 16, v25
	v_fmac_f16_e32 v88, v19, v78
	v_mul_f16_e32 v78, v82, v78
	v_mul_f16_e32 v82, v82, v80
	v_fmac_f16_e32 v92, v18, v79
	v_fmac_f16_e32 v77, v19, v80
	v_mul_f16_e32 v80, v66, v83
	v_fma_f16 v18, v18, v41, -v81
	v_mul_f16_e32 v41, v67, v84
	v_lshrrev_b32_e32 v90, 16, v26
	v_lshrrev_b32_e32 v79, 16, v27
	v_mul_f16_e32 v83, v42, v83
	v_fma_f16 v52, v19, v52, -v78
	v_fma_f16 v19, v19, v43, -v82
	v_mul_f16_e32 v43, v44, v84
	v_mul_f16_e32 v78, v69, v85
	;; [unrolled: 1-line block ×3, first 2 shown]
	v_fma_f16 v42, v42, v20, -v80
	v_mul_f16_e32 v80, v70, v86
	v_mul_f16_e32 v82, v47, v86
	;; [unrolled: 1-line block ×4, first 2 shown]
	v_fma_f16 v41, v44, v21, -v41
	v_mul_f16_e32 v44, v73, v89
	v_mul_f16_e32 v86, v48, v89
	;; [unrolled: 1-line block ×4, first 2 shown]
	v_fmac_f16_e32 v83, v66, v20
	v_mul_f16_e32 v20, v76, v79
	v_mul_f16_e32 v66, v60, v79
	v_fmac_f16_e32 v43, v67, v21
	v_fma_f16 v21, v45, v22, -v78
	v_fmac_f16_e32 v81, v69, v22
	v_fma_f16 v22, v47, v23, -v80
	;; [unrolled: 2-line block ×6, first 2 shown]
	v_fmac_f16_e32 v66, v76, v27
	v_add_f16_e32 v26, v53, v54
	v_add_f16_e32 v27, v54, v52
	;; [unrolled: 1-line block ×8, first 2 shown]
	v_sub_f16_e32 v79, v81, v82
	v_add_f16_e32 v80, v68, v81
	v_add_f16_e32 v81, v81, v82
	v_add_f16_e32 v84, v23, v24
	v_sub_f16_e32 v87, v85, v86
	v_add_f16_e32 v90, v71, v85
	v_add_f16_e32 v85, v85, v86
	v_sub_f16_e32 v44, v91, v88
	v_add_f16_e32 v45, v63, v91
	v_sub_f16_e32 v47, v54, v52
	v_sub_f16_e32 v54, v92, v77
	v_add_f16_e32 v60, v64, v92
	v_add_f16_e32 v91, v50, v25
	;; [unrolled: 1-line block ×4, first 2 shown]
	v_sub_f16_e32 v52, v89, v66
	v_fmac_f16_e32 v53, -0.5, v27
	v_add_f16_e32 v27, v74, v89
	v_add_f16_e32 v89, v89, v66
	v_fmac_f16_e32 v63, -0.5, v46
	v_add_f16_e32 v48, v55, v18
	v_add_f16_e32 v69, v39, v42
	;; [unrolled: 1-line block ×3, first 2 shown]
	v_sub_f16_e32 v18, v18, v19
	v_fmac_f16_e32 v55, -0.5, v51
	v_fmac_f16_e32 v64, -0.5, v67
	v_sub_f16_e32 v72, v83, v43
	v_sub_f16_e32 v42, v42, v41
	v_fma_f16 v39, -0.5, v70, v39
	v_fmac_f16_e32 v65, -0.5, v75
	v_add_f16_e32 v76, v40, v21
	v_sub_f16_e32 v21, v21, v22
	v_add_f16_e32 v83, v49, v23
	v_sub_f16_e32 v23, v23, v24
	v_fmac_f16_e32 v40, -0.5, v78
	v_fmac_f16_e32 v68, -0.5, v81
	v_fma_f16 v49, -0.5, v84, v49
	v_fmac_f16_e32 v71, -0.5, v85
	v_sub_f16_e32 v25, v25, v20
	v_add_f16_e32 v45, v45, v88
	v_add_f16_e32 v46, v60, v77
	;; [unrolled: 1-line block ×3, first 2 shown]
	v_fmac_f16_e32 v50, -0.5, v92
	v_add_f16_e32 v27, v27, v66
	v_fmac_f16_e32 v74, -0.5, v89
	v_fmamk_f16 v60, v44, 0x3aee, v53
	v_fmac_f16_e32 v53, 0xbaee, v44
	v_fmamk_f16 v44, v47, 0xbaee, v63
	v_add_f16_e32 v19, v48, v19
	v_add_f16_e32 v41, v69, v41
	;; [unrolled: 1-line block ×3, first 2 shown]
	v_fmac_f16_e32 v63, 0x3aee, v47
	v_fmamk_f16 v47, v54, 0x3aee, v55
	v_fmac_f16_e32 v55, 0xbaee, v54
	v_fmamk_f16 v54, v18, 0xbaee, v64
	;; [unrolled: 2-line block ×3, first 2 shown]
	v_fmamk_f16 v66, v42, 0xbaee, v65
	v_add_f16_e32 v22, v76, v22
	v_add_f16_e32 v48, v80, v82
	v_fmac_f16_e32 v65, 0x3aee, v42
	v_fmamk_f16 v42, v79, 0x3aee, v40
	v_fmamk_f16 v67, v21, 0xbaee, v68
	v_fmac_f16_e32 v68, 0x3aee, v21
	v_fmamk_f16 v21, v87, 0x3aee, v49
	v_fmamk_f16 v69, v23, 0xbaee, v71
	v_add_f16_e32 v24, v83, v24
	v_add_f16_e32 v51, v90, v86
	v_fmac_f16_e32 v39, 0xbaee, v72
	v_fmac_f16_e32 v40, 0xbaee, v79
	;; [unrolled: 1-line block ×4, first 2 shown]
	v_fmamk_f16 v23, v52, 0x3aee, v50
	v_fmac_f16_e32 v50, 0xbaee, v52
	v_fmamk_f16 v52, v25, 0xbaee, v74
	v_fmac_f16_e32 v74, 0x3aee, v25
	v_pack_b32_f16 v25, v26, v45
	v_pack_b32_f16 v20, v20, v27
	;; [unrolled: 1-line block ×18, first 2 shown]
	ds_store_2addr_b32 v0, v25, v27 offset1:99
	ds_store_2addr_b32 v4, v41, v19 offset0:70 offset1:169
	ds_store_2addr_b32 v36, v43, v44 offset0:140 offset1:239
	ds_store_2addr_b32 v58, v26, v18 offset0:82 offset1:181
	ds_store_2addr_b32 v59, v22, v42 offset0:123 offset1:222
	ds_store_2addr_b32 v61, v24, v21 offset0:36 offset1:135
	ds_store_2addr_b32 v62, v20, v23 offset0:77 offset1:176
	ds_store_b32 v8, v39 offset:3168
	ds_store_b32 v12, v40 offset:4356
	;; [unrolled: 1-line block ×4, first 2 shown]
	global_wb scope:SCOPE_SE
	s_wait_dscnt 0x0
	s_barrier_signal -1
	s_barrier_wait -1
	global_inv scope:SCOPE_SE
	s_clause 0x2
	global_load_b64 v[11:12], v[10:11], off offset:1144
	global_load_b64 v[18:19], v[28:29], off offset:1144
	;; [unrolled: 1-line block ×3, first 2 shown]
	v_mov_b32_e32 v4, v9
	v_mov_b32_e32 v8, v9
	ds_load_b32 v44, v0
	ds_load_b32 v45, v14 offset:2376
	ds_load_b32 v46, v13
	ds_load_2addr_b32 v[22:23], v17 offset0:70 offset1:169
	ds_load_2addr_b32 v[24:25], v15 offset0:53 offset1:152
	;; [unrolled: 1-line block ×6, first 2 shown]
	v_lshlrev_b64_e32 v[9:10], 2, v[3:4]
	ds_load_2addr_b32 v[42:43], v33 offset0:65 offset1:164
	ds_load_b32 v4, v0 offset:6732
	v_lshlrev_b64_e32 v[40:41], 2, v[7:8]
	global_wb scope:SCOPE_SE
	s_wait_loadcnt_dscnt 0x0
	s_barrier_signal -1
	s_barrier_wait -1
	v_add_co_u32 v7, s0, s8, v9
	s_wait_alu 0xf1ff
	v_add_co_ci_u32_e64 v8, s0, s9, v10, s0
	global_inv scope:SCOPE_SE
	v_lshrrev_b32_e32 v47, 16, v44
	v_lshrrev_b32_e32 v61, 16, v45
	v_lshrrev_b32_e32 v48, 16, v46
	v_lshrrev_b32_e32 v49, 16, v22
	v_lshrrev_b32_e32 v63, 16, v24
	v_lshrrev_b32_e32 v64, 16, v26
	v_lshrrev_b32_e32 v50, 16, v25
	v_lshrrev_b32_e32 v51, 16, v27
	v_lshrrev_b32_e32 v62, 16, v43
	v_lshrrev_b32_e32 v53, 16, v28
	v_lshrrev_b32_e32 v54, 16, v36
	v_lshrrev_b32_e32 v56, 16, v29
	v_lshrrev_b32_e32 v57, 16, v37
	v_lshrrev_b32_e32 v59, 16, v42
	v_lshrrev_b32_e32 v60, 16, v4
	v_lshrrev_b32_e32 v52, 16, v23
	v_lshrrev_b32_e32 v55, 16, v38
	v_lshrrev_b32_e32 v58, 16, v39
	v_lshrrev_b32_e32 v65, 16, v11
	v_lshrrev_b32_e32 v66, 16, v12
	v_lshrrev_b32_e32 v67, 16, v18
	v_lshrrev_b32_e32 v68, 16, v19
	v_lshrrev_b32_e32 v69, 16, v20
	v_lshrrev_b32_e32 v70, 16, v21
	v_mul_f16_e32 v71, v65, v61
	v_mul_f16_e32 v72, v65, v45
	;; [unrolled: 1-line block ×24, first 2 shown]
	v_fma_f16 v45, v11, v45, -v71
	v_fmac_f16_e32 v72, v11, v61
	v_fma_f16 v43, v12, v43, -v73
	v_fmac_f16_e32 v74, v12, v62
	;; [unrolled: 2-line block ×12, first 2 shown]
	v_add_f16_e32 v21, v45, v43
	v_add_f16_e32 v37, v72, v74
	v_add_f16_e32 v50, v24, v26
	v_add_f16_e32 v54, v76, v78
	v_add_f16_e32 v20, v44, v45
	v_add_f16_e32 v36, v47, v72
	v_sub_f16_e32 v51, v76, v78
	v_add_f16_e32 v53, v48, v76
	v_add_f16_e32 v57, v25, v27
	v_sub_f16_e32 v59, v80, v82
	v_add_f16_e32 v60, v49, v80
	v_add_f16_e32 v61, v80, v82
	v_add_f16_e32 v63, v28, v11
	v_sub_f16_e32 v64, v65, v66
	v_add_f16_e32 v71, v52, v65
	;; [unrolled: 4-line block ×4, first 2 shown]
	v_add_f16_e32 v69, v69, v70
	v_sub_f16_e32 v29, v72, v74
	v_sub_f16_e32 v42, v45, v43
	v_add_f16_e32 v45, v46, v24
	v_fmac_f16_e32 v44, -0.5, v21
	v_fmac_f16_e32 v47, -0.5, v37
	v_add_f16_e32 v56, v22, v25
	v_sub_f16_e32 v24, v24, v26
	v_add_f16_e32 v62, v23, v28
	v_fmac_f16_e32 v46, -0.5, v50
	v_fmac_f16_e32 v48, -0.5, v54
	v_sub_f16_e32 v25, v25, v27
	v_sub_f16_e32 v28, v28, v11
	v_add_f16_e32 v72, v38, v12
	v_sub_f16_e32 v12, v12, v18
	v_add_f16_e32 v77, v39, v19
	;; [unrolled: 2-line block ×3, first 2 shown]
	v_add_f16_e32 v21, v36, v74
	v_fma_f16 v22, -0.5, v57, v22
	v_fmac_f16_e32 v49, -0.5, v61
	v_fmac_f16_e32 v23, -0.5, v63
	v_fmac_f16_e32 v52, -0.5, v65
	v_fma_f16 v38, -0.5, v73, v38
	v_fmac_f16_e32 v55, -0.5, v67
	v_fmac_f16_e32 v39, -0.5, v79
	;; [unrolled: 1-line block ×3, first 2 shown]
	v_add_f16_e32 v26, v45, v26
	v_add_f16_e32 v36, v53, v78
	v_fmamk_f16 v53, v29, 0x3aee, v44
	v_fmac_f16_e32 v44, 0xbaee, v29
	v_fmamk_f16 v29, v42, 0xbaee, v47
	v_add_f16_e32 v27, v56, v27
	v_add_f16_e32 v37, v60, v82
	v_fmac_f16_e32 v47, 0x3aee, v42
	v_add_f16_e32 v11, v62, v11
	v_add_f16_e32 v43, v71, v66
	v_fmamk_f16 v42, v51, 0x3aee, v46
	v_fmac_f16_e32 v46, 0xbaee, v51
	v_fmamk_f16 v51, v24, 0xbaee, v48
	v_add_f16_e32 v18, v72, v18
	v_add_f16_e32 v45, v76, v68
	;; [unrolled: 1-line block ×4, first 2 shown]
	v_fmac_f16_e32 v48, 0x3aee, v24
	v_fmamk_f16 v24, v59, 0x3aee, v22
	v_fmac_f16_e32 v22, 0xbaee, v59
	v_fmamk_f16 v54, v25, 0xbaee, v49
	;; [unrolled: 2-line block ×8, first 2 shown]
	v_fmac_f16_e32 v58, 0x3aee, v19
	v_pack_b32_f16 v19, v20, v21
	v_pack_b32_f16 v20, v26, v36
	;; [unrolled: 1-line block ×18, first 2 shown]
	ds_store_b32 v0, v19
	ds_store_b32 v0, v26 offset:1188
	ds_store_b32 v0, v27 offset:2376
	ds_store_b32 v13, v20
	ds_store_b32 v13, v29 offset:1188
	ds_store_b32 v13, v36 offset:2376
	;; [unrolled: 1-line block ×14, first 2 shown]
	v_add_co_u32 v11, s0, s8, v40
	s_wait_alu 0xf1ff
	v_add_co_ci_u32_e64 v12, s0, s9, v41, s0
	global_wb scope:SCOPE_SE
	s_wait_dscnt 0x0
	s_barrier_signal -1
	s_barrier_wait -1
	global_inv scope:SCOPE_SE
	s_clause 0x8
	global_load_b32 v4, v[7:8], off offset:5500
	global_load_b32 v36, v[7:8], off offset:5896
	;; [unrolled: 1-line block ×9, first 2 shown]
	ds_load_2addr_b32 v[18:19], v32 offset0:123 offset1:222
	ds_load_2addr_b32 v[20:21], v33 offset0:65 offset1:164
	;; [unrolled: 1-line block ×4, first 2 shown]
	ds_load_b32 v34, v0 offset:6732
	ds_load_b32 v35, v0
	ds_load_b32 v41, v13
	ds_load_2addr_b32 v[26:27], v17 offset0:70 offset1:169
	ds_load_2addr_b32 v[28:29], v16 offset0:140 offset1:239
	ds_load_b32 v47, v14 offset:2376
	ds_load_2addr_b32 v[32:33], v15 offset0:53 offset1:152
	v_add_nc_u32_e32 v45, 0x1000, v14
	v_add_nc_u32_e32 v46, 0x1400, v14
	global_wb scope:SCOPE_SE
	s_wait_loadcnt_dscnt 0x0
	s_barrier_signal -1
	s_barrier_wait -1
	global_inv scope:SCOPE_SE
	v_cmp_ne_u32_e64 s0, 0, v3
	v_pk_mul_f16 v52, v23, v4 op_sel:[0,1]
	v_pk_mul_f16 v53, v24, v36 op_sel:[0,1]
	;; [unrolled: 1-line block ×9, first 2 shown]
	v_pk_fma_f16 v57, v39, v18, v48 op_sel:[0,0,1] op_sel_hi:[1,1,0] neg_lo:[0,0,1] neg_hi:[0,0,1]
	v_pk_fma_f16 v18, v39, v18, v48 op_sel:[0,0,1] op_sel_hi:[1,0,0]
	v_pk_fma_f16 v39, v42, v20, v49 op_sel:[0,0,1] op_sel_hi:[1,1,0] neg_lo:[0,0,1] neg_hi:[0,0,1]
	v_pk_fma_f16 v20, v42, v20, v49 op_sel:[0,0,1] op_sel_hi:[1,0,0]
	;; [unrolled: 2-line block ×9, first 2 shown]
	v_bfi_b32 v18, 0xffff, v57, v18
	v_bfi_b32 v20, 0xffff, v39, v20
	;; [unrolled: 1-line block ×9, first 2 shown]
	v_pk_add_f16 v18, v35, v18 neg_lo:[0,1] neg_hi:[0,1]
	v_pk_add_f16 v19, v41, v19 neg_lo:[0,1] neg_hi:[0,1]
	;; [unrolled: 1-line block ×9, first 2 shown]
	v_pk_fma_f16 v34, v35, 2.0, v18 op_sel_hi:[1,0,1] neg_lo:[0,0,1] neg_hi:[0,0,1]
	v_pk_fma_f16 v36, v41, 2.0, v19 op_sel_hi:[1,0,1] neg_lo:[0,0,1] neg_hi:[0,0,1]
	;; [unrolled: 1-line block ×9, first 2 shown]
	ds_store_b32 v0, v34
	ds_store_b32 v0, v18 offset:3564
	ds_store_b32 v13, v36
	ds_store_b32 v13, v19 offset:3564
	ds_store_2addr_b32 v17, v26, v27 offset0:70 offset1:169
	ds_store_2addr_b32 v45, v20, v21 offset0:65 offset1:164
	;; [unrolled: 1-line block ×4, first 2 shown]
	ds_store_b32 v14, v35 offset:2376
	ds_store_b32 v14, v23 offset:5940
	ds_store_2addr_b32 v15, v32, v33 offset0:53 offset1:152
	ds_store_2addr_b32 v31, v24, v25 offset0:48 offset1:147
	global_wb scope:SCOPE_SE
	s_wait_dscnt 0x0
	s_barrier_signal -1
	s_barrier_wait -1
	global_inv scope:SCOPE_SE
	ds_load_b32 v17, v0
	v_lshlrev_b32_e32 v4, 2, v3
                                        ; implicit-def: $vgpr16
                                        ; implicit-def: $vgpr15
                                        ; implicit-def: $vgpr14
	s_delay_alu instid0(VALU_DEP_1)
	v_sub_nc_u32_e32 v4, 0, v4
	s_and_saveexec_b32 s1, s0
	s_wait_alu 0xfffe
	s_xor_b32 s0, exec_lo, s1
	s_cbranch_execz .LBB0_17
; %bb.16:
	global_load_b32 v7, v[7:8], off offset:7084
	ds_load_b32 v8, v4 offset:7128
	s_wait_dscnt 0x0
	v_pk_add_f16 v14, v17, v8 neg_lo:[0,1] neg_hi:[0,1]
	v_pk_add_f16 v8, v8, v17
	s_delay_alu instid0(VALU_DEP_1) | instskip(SKIP_1) | instid1(VALU_DEP_2)
	v_bfi_b32 v15, 0xffff, v14, v8
	v_bfi_b32 v8, 0xffff, v8, v14
	v_pk_mul_f16 v15, v15, 0.5 op_sel_hi:[1,0]
	s_delay_alu instid0(VALU_DEP_2) | instskip(SKIP_1) | instid1(VALU_DEP_2)
	v_pk_mul_f16 v16, v8, 0.5 op_sel_hi:[1,0]
	s_wait_loadcnt 0x0
	v_pk_mul_f16 v14, v7, v15 op_sel:[1,0]
	v_pk_mul_f16 v7, v7, v15 op_sel_hi:[0,1]
	s_delay_alu instid0(VALU_DEP_3) | instskip(NEXT) | instid1(VALU_DEP_3)
	v_lshrrev_b32_e32 v15, 16, v16
	v_pk_fma_f16 v8, v8, 0.5, v14 op_sel_hi:[1,0,1]
	v_lshrrev_b32_e32 v17, 16, v14
	v_sub_f16_e32 v14, v16, v14
	v_lshrrev_b32_e32 v16, 16, v7
	s_delay_alu instid0(VALU_DEP_4) | instskip(SKIP_2) | instid1(VALU_DEP_4)
	v_pk_add_f16 v18, v8, v7 op_sel:[0,1] op_sel_hi:[1,0]
	v_pk_add_f16 v8, v8, v7 op_sel:[0,1] op_sel_hi:[1,0] neg_lo:[0,1] neg_hi:[0,1]
	v_sub_f16_e32 v17, v17, v15
	v_sub_f16_e32 v15, v14, v16
	s_delay_alu instid0(VALU_DEP_3) | instskip(NEXT) | instid1(VALU_DEP_3)
	v_bfi_b32 v16, 0xffff, v18, v8
	v_sub_f16_e32 v14, v17, v7
                                        ; implicit-def: $vgpr17
.LBB0_17:
	s_wait_alu 0xfffe
	s_or_saveexec_b32 s0, s0
	v_mul_i32_i24_e32 v7, 0xffffffd8, v3
	s_wait_alu 0xfffe
	s_xor_b32 exec_lo, exec_lo, s0
	s_cbranch_execz .LBB0_19
; %bb.18:
	v_mov_b32_e32 v14, 0
	s_wait_dscnt 0x0
	v_alignbit_b32 v15, s0, v17, 16
	v_lshrrev_b32_e32 v16, 16, v17
	ds_load_u16 v8, v14 offset:3566
	v_pk_add_f16 v18, v15, v17
	v_sub_f16_e32 v15, v17, v16
	s_delay_alu instid0(VALU_DEP_2)
	v_pack_b32_f16 v16, v18, 0
	s_wait_dscnt 0x0
	v_xor_b32_e32 v8, 0x8000, v8
	ds_store_b16 v14, v8 offset:3566
.LBB0_19:
	s_or_b32 exec_lo, exec_lo, s0
	global_load_b32 v11, v[11:12], off offset:7084
	s_add_nc_u64 s[0:1], s[8:9], 0x1bac
	v_add_nc_u32_e32 v7, v30, v7
	s_wait_alu 0xfffe
	v_add_co_u32 v8, s0, s0, v9
	s_wait_alu 0xf1ff
	v_add_co_ci_u32_e64 v9, s0, s1, v10, s0
	s_clause 0x1
	global_load_b32 v10, v[8:9], off offset:792
	global_load_b32 v12, v[8:9], off offset:1188
	s_wait_dscnt 0x0
	s_clause 0x1
	global_load_b32 v17, v[8:9], off offset:1584
	global_load_b32 v18, v[8:9], off offset:1980
	ds_store_b16 v4, v14 offset:7130
	ds_store_b32 v0, v16
	ds_store_b16 v4, v15 offset:7128
	ds_load_b32 v14, v13
	ds_load_b32 v15, v4 offset:6732
	global_load_b32 v16, v[8:9], off offset:2376
	s_wait_dscnt 0x0
	v_pk_add_f16 v19, v14, v15 neg_lo:[0,1] neg_hi:[0,1]
	v_pk_add_f16 v14, v14, v15
	s_delay_alu instid0(VALU_DEP_1) | instskip(SKIP_1) | instid1(VALU_DEP_2)
	v_bfi_b32 v15, 0xffff, v19, v14
	v_bfi_b32 v14, 0xffff, v14, v19
	v_pk_mul_f16 v15, v15, 0.5 op_sel_hi:[1,0]
	s_delay_alu instid0(VALU_DEP_2) | instskip(SKIP_1) | instid1(VALU_DEP_1)
	v_pk_mul_f16 v14, v14, 0.5 op_sel_hi:[1,0]
	s_wait_loadcnt 0x5
	v_pk_fma_f16 v19, v11, v15, v14 op_sel:[1,0,0]
	v_pk_mul_f16 v20, v11, v15 op_sel_hi:[0,1]
	v_pk_fma_f16 v21, v11, v15, v14 op_sel:[1,0,0] neg_lo:[1,0,0] neg_hi:[1,0,0]
	v_pk_fma_f16 v11, v11, v15, v14 op_sel:[1,0,0] neg_lo:[0,0,1] neg_hi:[0,0,1]
	s_delay_alu instid0(VALU_DEP_3) | instskip(SKIP_1) | instid1(VALU_DEP_4)
	v_pk_add_f16 v14, v19, v20 op_sel:[0,1] op_sel_hi:[1,0]
	v_pk_add_f16 v15, v19, v20 op_sel:[0,1] op_sel_hi:[1,0] neg_lo:[0,1] neg_hi:[0,1]
	v_pk_add_f16 v19, v21, v20 op_sel:[0,1] op_sel_hi:[1,0] neg_lo:[0,1] neg_hi:[0,1]
	s_delay_alu instid0(VALU_DEP_4) | instskip(NEXT) | instid1(VALU_DEP_3)
	v_pk_add_f16 v11, v11, v20 op_sel:[0,1] op_sel_hi:[1,0] neg_lo:[0,1] neg_hi:[0,1]
	v_bfi_b32 v14, 0xffff, v14, v15
	s_delay_alu instid0(VALU_DEP_2)
	v_bfi_b32 v11, 0xffff, v19, v11
	ds_store_b32 v13, v14
	ds_store_b32 v4, v11 offset:6732
	ds_load_b32 v11, v7 offset:792
	ds_load_b32 v13, v4 offset:6336
	s_wait_dscnt 0x0
	v_pk_add_f16 v14, v11, v13 neg_lo:[0,1] neg_hi:[0,1]
	v_pk_add_f16 v11, v11, v13
	s_clause 0x1
	global_load_b32 v13, v[8:9], off offset:2772
	global_load_b32 v8, v[8:9], off offset:3168
	v_bfi_b32 v15, 0xffff, v14, v11
	v_bfi_b32 v11, 0xffff, v11, v14
	s_delay_alu instid0(VALU_DEP_2) | instskip(NEXT) | instid1(VALU_DEP_2)
	v_pk_mul_f16 v14, v15, 0.5 op_sel_hi:[1,0]
	v_pk_mul_f16 v9, v11, 0.5 op_sel_hi:[1,0]
	s_wait_loadcnt 0x6
	s_delay_alu instid0(VALU_DEP_2) | instskip(SKIP_1) | instid1(VALU_DEP_3)
	v_pk_mul_f16 v15, v10, v14 op_sel:[1,0]
	v_pk_mul_f16 v10, v10, v14 op_sel_hi:[0,1]
	v_lshrrev_b32_e32 v14, 16, v9
	s_delay_alu instid0(VALU_DEP_3) | instskip(SKIP_2) | instid1(VALU_DEP_3)
	v_lshrrev_b32_e32 v19, 16, v15
	v_pk_fma_f16 v11, v11, 0.5, v15 op_sel_hi:[1,0,1]
	v_sub_f16_e32 v9, v9, v15
	v_sub_f16_e32 v14, v19, v14
	s_delay_alu instid0(VALU_DEP_3) | instskip(SKIP_2) | instid1(VALU_DEP_4)
	v_pk_add_f16 v15, v11, v10 op_sel:[0,1] op_sel_hi:[1,0]
	v_pk_add_f16 v11, v11, v10 op_sel:[0,1] op_sel_hi:[1,0] neg_lo:[0,1] neg_hi:[0,1]
	v_lshrrev_b32_e32 v19, 16, v10
	v_sub_f16_e32 v10, v14, v10
	s_delay_alu instid0(VALU_DEP_3) | instskip(NEXT) | instid1(VALU_DEP_3)
	v_bfi_b32 v11, 0xffff, v15, v11
	v_sub_f16_e32 v9, v9, v19
	ds_store_b16 v4, v10 offset:6338
	ds_store_b32 v7, v11 offset:792
	ds_store_b16 v4, v9 offset:6336
	ds_load_b32 v9, v7 offset:1188
	ds_load_b32 v10, v4 offset:5940
	s_wait_dscnt 0x0
	v_pk_add_f16 v11, v9, v10 neg_lo:[0,1] neg_hi:[0,1]
	v_pk_add_f16 v9, v9, v10
	s_delay_alu instid0(VALU_DEP_1) | instskip(SKIP_1) | instid1(VALU_DEP_2)
	v_bfi_b32 v10, 0xffff, v11, v9
	v_bfi_b32 v9, 0xffff, v9, v11
	v_pk_mul_f16 v10, v10, 0.5 op_sel_hi:[1,0]
	s_delay_alu instid0(VALU_DEP_2) | instskip(SKIP_1) | instid1(VALU_DEP_2)
	v_pk_mul_f16 v11, v9, 0.5 op_sel_hi:[1,0]
	s_wait_loadcnt 0x5
	v_pk_mul_f16 v14, v12, v10 op_sel:[1,0]
	v_pk_mul_f16 v10, v12, v10 op_sel_hi:[0,1]
	s_delay_alu instid0(VALU_DEP_3) | instskip(NEXT) | instid1(VALU_DEP_3)
	v_lshrrev_b32_e32 v12, 16, v11
	v_lshrrev_b32_e32 v15, 16, v14
	v_pk_fma_f16 v9, v9, 0.5, v14 op_sel_hi:[1,0,1]
	v_sub_f16_e32 v11, v11, v14
	s_delay_alu instid0(VALU_DEP_3) | instskip(NEXT) | instid1(VALU_DEP_3)
	v_sub_f16_e32 v12, v15, v12
	v_pk_add_f16 v14, v9, v10 op_sel:[0,1] op_sel_hi:[1,0]
	v_pk_add_f16 v9, v9, v10 op_sel:[0,1] op_sel_hi:[1,0] neg_lo:[0,1] neg_hi:[0,1]
	v_lshrrev_b32_e32 v15, 16, v10
	s_delay_alu instid0(VALU_DEP_4) | instskip(NEXT) | instid1(VALU_DEP_3)
	v_sub_f16_e32 v10, v12, v10
	v_bfi_b32 v9, 0xffff, v14, v9
	s_delay_alu instid0(VALU_DEP_3)
	v_sub_f16_e32 v11, v11, v15
	ds_store_b16 v4, v10 offset:5942
	ds_store_b32 v7, v9 offset:1188
	ds_store_b16 v4, v11 offset:5940
	ds_load_b32 v9, v7 offset:1584
	ds_load_b32 v10, v4 offset:5544
	s_wait_dscnt 0x0
	v_pk_add_f16 v11, v9, v10 neg_lo:[0,1] neg_hi:[0,1]
	v_pk_add_f16 v9, v9, v10
	s_delay_alu instid0(VALU_DEP_1) | instskip(SKIP_1) | instid1(VALU_DEP_2)
	v_bfi_b32 v10, 0xffff, v11, v9
	v_bfi_b32 v9, 0xffff, v9, v11
	v_pk_mul_f16 v10, v10, 0.5 op_sel_hi:[1,0]
	s_delay_alu instid0(VALU_DEP_2) | instskip(SKIP_1) | instid1(VALU_DEP_2)
	v_pk_mul_f16 v11, v9, 0.5 op_sel_hi:[1,0]
	s_wait_loadcnt 0x4
	v_pk_mul_f16 v12, v17, v10 op_sel:[1,0]
	s_delay_alu instid0(VALU_DEP_2) | instskip(SKIP_1) | instid1(VALU_DEP_3)
	v_lshrrev_b32_e32 v14, 16, v11
	v_pk_mul_f16 v10, v17, v10 op_sel_hi:[0,1]
	v_lshrrev_b32_e32 v15, 16, v12
	v_pk_fma_f16 v9, v9, 0.5, v12 op_sel_hi:[1,0,1]
	v_sub_f16_e32 v11, v11, v12
	s_delay_alu instid0(VALU_DEP_3) | instskip(NEXT) | instid1(VALU_DEP_3)
	v_sub_f16_e32 v14, v15, v14
	v_pk_add_f16 v12, v9, v10 op_sel:[0,1] op_sel_hi:[1,0]
	v_pk_add_f16 v9, v9, v10 op_sel:[0,1] op_sel_hi:[1,0] neg_lo:[0,1] neg_hi:[0,1]
	v_lshrrev_b32_e32 v15, 16, v10
	s_delay_alu instid0(VALU_DEP_4) | instskip(NEXT) | instid1(VALU_DEP_3)
	v_sub_f16_e32 v10, v14, v10
	v_bfi_b32 v9, 0xffff, v12, v9
	s_delay_alu instid0(VALU_DEP_3)
	v_sub_f16_e32 v11, v11, v15
	ds_store_b16 v4, v10 offset:5546
	ds_store_b32 v7, v9 offset:1584
	ds_store_b16 v4, v11 offset:5544
	ds_load_b32 v9, v7 offset:1980
	ds_load_b32 v10, v4 offset:5148
	s_wait_dscnt 0x0
	v_pk_add_f16 v11, v9, v10 neg_lo:[0,1] neg_hi:[0,1]
	v_pk_add_f16 v9, v9, v10
	s_delay_alu instid0(VALU_DEP_1) | instskip(SKIP_1) | instid1(VALU_DEP_2)
	v_bfi_b32 v10, 0xffff, v11, v9
	v_bfi_b32 v9, 0xffff, v9, v11
	v_pk_mul_f16 v10, v10, 0.5 op_sel_hi:[1,0]
	s_delay_alu instid0(VALU_DEP_2) | instskip(SKIP_1) | instid1(VALU_DEP_2)
	v_pk_mul_f16 v11, v9, 0.5 op_sel_hi:[1,0]
	s_wait_loadcnt 0x3
	v_pk_mul_f16 v12, v18, v10 op_sel:[1,0]
	s_delay_alu instid0(VALU_DEP_2) | instskip(SKIP_1) | instid1(VALU_DEP_3)
	v_lshrrev_b32_e32 v14, 16, v11
	v_pk_mul_f16 v10, v18, v10 op_sel_hi:[0,1]
	;; [unrolled: 32-line block ×3, first 2 shown]
	v_lshrrev_b32_e32 v15, 16, v12
	v_pk_fma_f16 v9, v9, 0.5, v12 op_sel_hi:[1,0,1]
	v_sub_f16_e32 v11, v11, v12
	s_delay_alu instid0(VALU_DEP_3) | instskip(NEXT) | instid1(VALU_DEP_3)
	v_sub_f16_e32 v14, v15, v14
	v_pk_add_f16 v12, v9, v10 op_sel:[0,1] op_sel_hi:[1,0]
	v_pk_add_f16 v9, v9, v10 op_sel:[0,1] op_sel_hi:[1,0] neg_lo:[0,1] neg_hi:[0,1]
	v_lshrrev_b32_e32 v15, 16, v10
	s_delay_alu instid0(VALU_DEP_4) | instskip(NEXT) | instid1(VALU_DEP_3)
	v_sub_f16_e32 v10, v14, v10
	v_bfi_b32 v9, 0xffff, v12, v9
	s_delay_alu instid0(VALU_DEP_3)
	v_sub_f16_e32 v11, v11, v15
	ds_store_b16 v4, v10 offset:4754
	ds_store_b32 v7, v9 offset:2376
	ds_store_b16 v4, v11 offset:4752
	ds_load_b32 v7, v0 offset:2772
	ds_load_b32 v9, v4 offset:4356
	s_wait_dscnt 0x0
	v_pk_add_f16 v10, v7, v9 neg_lo:[0,1] neg_hi:[0,1]
	v_pk_add_f16 v7, v7, v9
	s_delay_alu instid0(VALU_DEP_1) | instskip(SKIP_1) | instid1(VALU_DEP_2)
	v_bfi_b32 v9, 0xffff, v10, v7
	v_bfi_b32 v7, 0xffff, v7, v10
	v_pk_mul_f16 v9, v9, 0.5 op_sel_hi:[1,0]
	s_delay_alu instid0(VALU_DEP_2) | instskip(SKIP_1) | instid1(VALU_DEP_1)
	v_pk_mul_f16 v7, v7, 0.5 op_sel_hi:[1,0]
	s_wait_loadcnt 0x1
	v_pk_fma_f16 v10, v13, v9, v7 op_sel:[1,0,0]
	v_pk_mul_f16 v11, v13, v9 op_sel_hi:[0,1]
	v_pk_fma_f16 v12, v13, v9, v7 op_sel:[1,0,0] neg_lo:[1,0,0] neg_hi:[1,0,0]
	v_pk_fma_f16 v7, v13, v9, v7 op_sel:[1,0,0] neg_lo:[0,0,1] neg_hi:[0,0,1]
	s_delay_alu instid0(VALU_DEP_3) | instskip(SKIP_1) | instid1(VALU_DEP_4)
	v_pk_add_f16 v9, v10, v11 op_sel:[0,1] op_sel_hi:[1,0]
	v_pk_add_f16 v10, v10, v11 op_sel:[0,1] op_sel_hi:[1,0] neg_lo:[0,1] neg_hi:[0,1]
	v_pk_add_f16 v12, v12, v11 op_sel:[0,1] op_sel_hi:[1,0] neg_lo:[0,1] neg_hi:[0,1]
	s_delay_alu instid0(VALU_DEP_4) | instskip(NEXT) | instid1(VALU_DEP_3)
	v_pk_add_f16 v7, v7, v11 op_sel:[0,1] op_sel_hi:[1,0] neg_lo:[0,1] neg_hi:[0,1]
	v_bfi_b32 v9, 0xffff, v9, v10
	s_delay_alu instid0(VALU_DEP_2)
	v_bfi_b32 v7, 0xffff, v12, v7
	ds_store_b32 v0, v9 offset:2772
	ds_store_b32 v4, v7 offset:4356
	ds_load_b32 v7, v0 offset:3168
	ds_load_b32 v9, v4 offset:3960
	s_wait_dscnt 0x0
	v_pk_add_f16 v10, v7, v9 neg_lo:[0,1] neg_hi:[0,1]
	v_pk_add_f16 v7, v7, v9
	s_delay_alu instid0(VALU_DEP_1) | instskip(SKIP_1) | instid1(VALU_DEP_2)
	v_bfi_b32 v9, 0xffff, v10, v7
	v_bfi_b32 v7, 0xffff, v7, v10
	v_pk_mul_f16 v9, v9, 0.5 op_sel_hi:[1,0]
	s_delay_alu instid0(VALU_DEP_2) | instskip(SKIP_1) | instid1(VALU_DEP_2)
	v_pk_mul_f16 v7, v7, 0.5 op_sel_hi:[1,0]
	s_wait_loadcnt 0x0
	v_pk_mul_f16 v11, v8, v9 op_sel_hi:[0,1]
	s_delay_alu instid0(VALU_DEP_2) | instskip(SKIP_2) | instid1(VALU_DEP_3)
	v_pk_fma_f16 v10, v8, v9, v7 op_sel:[1,0,0]
	v_pk_fma_f16 v12, v8, v9, v7 op_sel:[1,0,0] neg_lo:[1,0,0] neg_hi:[1,0,0]
	v_pk_fma_f16 v7, v8, v9, v7 op_sel:[1,0,0] neg_lo:[0,0,1] neg_hi:[0,0,1]
	v_pk_add_f16 v8, v10, v11 op_sel:[0,1] op_sel_hi:[1,0]
	v_pk_add_f16 v9, v10, v11 op_sel:[0,1] op_sel_hi:[1,0] neg_lo:[0,1] neg_hi:[0,1]
	s_delay_alu instid0(VALU_DEP_4) | instskip(NEXT) | instid1(VALU_DEP_4)
	v_pk_add_f16 v10, v12, v11 op_sel:[0,1] op_sel_hi:[1,0] neg_lo:[0,1] neg_hi:[0,1]
	v_pk_add_f16 v7, v7, v11 op_sel:[0,1] op_sel_hi:[1,0] neg_lo:[0,1] neg_hi:[0,1]
	s_delay_alu instid0(VALU_DEP_3) | instskip(NEXT) | instid1(VALU_DEP_2)
	v_bfi_b32 v8, 0xffff, v8, v9
	v_bfi_b32 v7, 0xffff, v10, v7
	ds_store_b32 v0, v8 offset:3168
	ds_store_b32 v4, v7 offset:3960
	global_wb scope:SCOPE_SE
	s_wait_dscnt 0x0
	s_barrier_signal -1
	s_barrier_wait -1
	global_inv scope:SCOPE_SE
	s_and_saveexec_b32 s0, vcc_lo
	s_cbranch_execz .LBB0_22
; %bb.20:
	v_mul_lo_u32 v0, s3, v5
	v_mul_lo_u32 v7, s2, v6
	v_mad_co_u64_u32 v[5:6], null, s2, v5, 0
	v_mov_b32_e32 v4, 0
	v_lshl_add_u32 v33, v3, 2, 0
	v_add_nc_u32_e32 v21, 0x1ef, v3
	v_add_nc_u32_e32 v23, 0x252, v3
	;; [unrolled: 1-line block ×4, first 2 shown]
	v_add3_u32 v6, v6, v7, v0
	v_add_nc_u32_e32 v7, 0x63, v3
	v_lshlrev_b64_e32 v[0:1], 2, v[1:2]
	v_lshlrev_b64_e32 v[13:14], 2, v[3:4]
	v_dual_mov_b32 v8, v4 :: v_dual_add_nc_u32 v9, 0xc6, v3
	v_lshlrev_b64_e32 v[5:6], 2, v[5:6]
	v_mov_b32_e32 v10, v4
	v_add_nc_u32_e32 v2, 0x200, v33
	v_mov_b32_e32 v18, v4
	ds_load_2addr_b32 v[11:12], v33 offset1:99
	v_mov_b32_e32 v22, v4
	v_add_co_u32 v15, vcc_lo, s6, v5
	s_wait_alu 0xfffd
	v_add_co_ci_u32_e32 v16, vcc_lo, s7, v6, vcc_lo
	v_lshlrev_b64_e32 v[5:6], 2, v[7:8]
	s_delay_alu instid0(VALU_DEP_3) | instskip(SKIP_1) | instid1(VALU_DEP_3)
	v_add_co_u32 v0, vcc_lo, v15, v0
	s_wait_alu 0xfffd
	v_add_co_ci_u32_e32 v1, vcc_lo, v16, v1, vcc_lo
	v_lshlrev_b64_e32 v[7:8], 2, v[9:10]
	s_delay_alu instid0(VALU_DEP_3) | instskip(SKIP_1) | instid1(VALU_DEP_3)
	v_add_co_u32 v9, vcc_lo, v0, v13
	s_wait_alu 0xfffd
	v_add_co_ci_u32_e32 v10, vcc_lo, v1, v14, vcc_lo
	v_dual_mov_b32 v14, v4 :: v_dual_add_nc_u32 v13, 0x129, v3
	v_add_nc_u32_e32 v17, 0x18c, v3
	ds_load_2addr_b32 v[15:16], v2 offset0:70 offset1:169
	v_add_nc_u32_e32 v2, 0x400, v33
	v_add_co_u32 v5, vcc_lo, v0, v5
	v_lshlrev_b64_e32 v[13:14], 2, v[13:14]
	s_wait_alu 0xfffd
	v_add_co_ci_u32_e32 v6, vcc_lo, v1, v6, vcc_lo
	ds_load_2addr_b32 v[19:20], v2 offset0:140 offset1:239
	v_add_nc_u32_e32 v2, 0x800, v33
	v_add_co_u32 v7, vcc_lo, v0, v7
	v_lshlrev_b64_e32 v[17:18], 2, v[17:18]
	v_mov_b32_e32 v24, v4
	s_wait_alu 0xfffd
	v_add_co_ci_u32_e32 v8, vcc_lo, v1, v8, vcc_lo
	v_add_co_u32 v13, vcc_lo, v0, v13
	v_lshlrev_b64_e32 v[21:22], 2, v[21:22]
	ds_load_2addr_b32 v[27:28], v2 offset0:82 offset1:181
	v_mov_b32_e32 v26, v4
	s_wait_alu 0xfffd
	v_add_co_ci_u32_e32 v14, vcc_lo, v1, v14, vcc_lo
	v_add_co_u32 v17, vcc_lo, v0, v17
	v_lshlrev_b64_e32 v[23:24], 2, v[23:24]
	s_wait_alu 0xfffd
	v_add_co_ci_u32_e32 v18, vcc_lo, v1, v18, vcc_lo
	v_add_co_u32 v21, vcc_lo, v0, v21
	v_lshlrev_b64_e32 v[25:26], 2, v[25:26]
	s_wait_alu 0xfffd
	v_add_co_ci_u32_e32 v22, vcc_lo, v1, v22, vcc_lo
	v_dual_mov_b32 v30, v4 :: v_dual_add_nc_u32 v31, 0x37b, v3
	v_add_co_u32 v23, vcc_lo, v0, v23
	s_wait_alu 0xfffd
	v_add_co_ci_u32_e32 v24, vcc_lo, v1, v24, vcc_lo
	v_mov_b32_e32 v32, v4
	v_add_co_u32 v25, vcc_lo, v0, v25
	v_lshlrev_b64_e32 v[29:30], 2, v[29:30]
	s_wait_alu 0xfffd
	v_add_co_ci_u32_e32 v26, vcc_lo, v1, v26, vcc_lo
	s_wait_dscnt 0x3
	s_clause 0x1
	global_store_b32 v[9:10], v11, off
	global_store_b32 v[5:6], v12, off
	s_wait_dscnt 0x2
	s_clause 0x1
	global_store_b32 v[7:8], v15, off
	global_store_b32 v[13:14], v16, off
	;; [unrolled: 4-line block ×4, first 2 shown]
	v_dual_mov_b32 v12, v4 :: v_dual_add_nc_u32 v11, 0x3de, v3
	v_add_nc_u32_e32 v15, 0x441, v3
	v_add_nc_u32_e32 v2, 0xc00, v33
	v_lshlrev_b64_e32 v[7:8], 2, v[31:32]
	v_dual_mov_b32 v16, v4 :: v_dual_add_nc_u32 v17, 0x4a4, v3
	v_add_co_u32 v9, vcc_lo, v0, v29
	v_lshlrev_b64_e32 v[11:12], 2, v[11:12]
	ds_load_2addr_b32 v[5:6], v2 offset0:24 offset1:123
	v_add_nc_u32_e32 v2, 0xe00, v33
	v_dual_mov_b32 v18, v4 :: v_dual_add_nc_u32 v19, 0x507, v3
	s_wait_alu 0xfffd
	v_add_co_ci_u32_e32 v10, vcc_lo, v1, v30, vcc_lo
	v_add_co_u32 v7, vcc_lo, v0, v7
	v_lshlrev_b64_e32 v[15:16], 2, v[15:16]
	v_dual_mov_b32 v20, v4 :: v_dual_add_nc_u32 v23, 0x56a, v3
	s_wait_alu 0xfffd
	v_add_co_ci_u32_e32 v8, vcc_lo, v1, v8, vcc_lo
	ds_load_2addr_b32 v[13:14], v2 offset0:94 offset1:193
	v_add_co_u32 v11, vcc_lo, v0, v11
	v_add_nc_u32_e32 v2, 0x1200, v33
	v_lshlrev_b64_e32 v[17:18], 2, v[17:18]
	v_dual_mov_b32 v24, v4 :: v_dual_add_nc_u32 v27, 0x5cd, v3
	s_wait_alu 0xfffd
	v_add_co_ci_u32_e32 v12, vcc_lo, v1, v12, vcc_lo
	v_add_co_u32 v15, vcc_lo, v0, v15
	v_lshlrev_b64_e32 v[19:20], 2, v[19:20]
	v_dual_mov_b32 v28, v4 :: v_dual_add_nc_u32 v29, 0x630, v3
	s_wait_alu 0xfffd
	v_add_co_ci_u32_e32 v16, vcc_lo, v1, v16, vcc_lo
	ds_load_2addr_b32 v[21:22], v2 offset0:36 offset1:135
	v_add_nc_u32_e32 v2, 0x1400, v33
	v_add_co_u32 v17, vcc_lo, v0, v17
	v_lshlrev_b64_e32 v[23:24], 2, v[23:24]
	v_mov_b32_e32 v30, v4
	s_wait_alu 0xfffd
	v_add_co_ci_u32_e32 v18, vcc_lo, v1, v18, vcc_lo
	v_add_co_u32 v19, vcc_lo, v0, v19
	v_lshlrev_b64_e32 v[27:28], 2, v[27:28]
	ds_load_2addr_b32 v[25:26], v2 offset0:106 offset1:205
	v_add_nc_u32_e32 v2, 0x1800, v33
	v_dual_mov_b32 v34, v4 :: v_dual_add_nc_u32 v33, 0x693, v3
	s_wait_alu 0xfffd
	v_add_co_ci_u32_e32 v20, vcc_lo, v1, v20, vcc_lo
	v_add_co_u32 v23, vcc_lo, v0, v23
	v_lshlrev_b64_e32 v[29:30], 2, v[29:30]
	s_wait_alu 0xfffd
	v_add_co_ci_u32_e32 v24, vcc_lo, v1, v24, vcc_lo
	v_add_co_u32 v27, vcc_lo, v0, v27
	v_lshlrev_b64_e32 v[33:34], 2, v[33:34]
	ds_load_2addr_b32 v[31:32], v2 offset0:48 offset1:147
	s_wait_alu 0xfffd
	v_add_co_ci_u32_e32 v28, vcc_lo, v1, v28, vcc_lo
	v_add_co_u32 v29, vcc_lo, v0, v29
	s_wait_alu 0xfffd
	v_add_co_ci_u32_e32 v30, vcc_lo, v1, v30, vcc_lo
	v_add_co_u32 v33, vcc_lo, v0, v33
	s_wait_alu 0xfffd
	v_add_co_ci_u32_e32 v34, vcc_lo, v1, v34, vcc_lo
	v_cmp_eq_u32_e32 vcc_lo, 0x62, v3
	s_wait_dscnt 0x4
	s_clause 0x1
	global_store_b32 v[9:10], v5, off
	global_store_b32 v[7:8], v6, off
	s_wait_dscnt 0x3
	s_clause 0x1
	global_store_b32 v[11:12], v13, off
	global_store_b32 v[15:16], v14, off
	;; [unrolled: 4-line block ×5, first 2 shown]
	s_and_b32 exec_lo, exec_lo, vcc_lo
	s_cbranch_execz .LBB0_22
; %bb.21:
	ds_load_b32 v2, v4 offset:7128
	s_wait_dscnt 0x0
	global_store_b32 v[0:1], v2, off offset:7128
.LBB0_22:
	s_nop 0
	s_sendmsg sendmsg(MSG_DEALLOC_VGPRS)
	s_endpgm
	.section	.rodata,"a",@progbits
	.p2align	6, 0x0
	.amdhsa_kernel fft_rtc_fwd_len1782_factors_11_3_3_3_3_2_wgs_99_tpt_99_halfLds_half_op_CI_CI_unitstride_sbrr_R2C_dirReg
		.amdhsa_group_segment_fixed_size 0
		.amdhsa_private_segment_fixed_size 0
		.amdhsa_kernarg_size 104
		.amdhsa_user_sgpr_count 2
		.amdhsa_user_sgpr_dispatch_ptr 0
		.amdhsa_user_sgpr_queue_ptr 0
		.amdhsa_user_sgpr_kernarg_segment_ptr 1
		.amdhsa_user_sgpr_dispatch_id 0
		.amdhsa_user_sgpr_private_segment_size 0
		.amdhsa_wavefront_size32 1
		.amdhsa_uses_dynamic_stack 0
		.amdhsa_enable_private_segment 0
		.amdhsa_system_sgpr_workgroup_id_x 1
		.amdhsa_system_sgpr_workgroup_id_y 0
		.amdhsa_system_sgpr_workgroup_id_z 0
		.amdhsa_system_sgpr_workgroup_info 0
		.amdhsa_system_vgpr_workitem_id 0
		.amdhsa_next_free_vgpr 94
		.amdhsa_next_free_sgpr 39
		.amdhsa_reserve_vcc 1
		.amdhsa_float_round_mode_32 0
		.amdhsa_float_round_mode_16_64 0
		.amdhsa_float_denorm_mode_32 3
		.amdhsa_float_denorm_mode_16_64 3
		.amdhsa_fp16_overflow 0
		.amdhsa_workgroup_processor_mode 1
		.amdhsa_memory_ordered 1
		.amdhsa_forward_progress 0
		.amdhsa_round_robin_scheduling 0
		.amdhsa_exception_fp_ieee_invalid_op 0
		.amdhsa_exception_fp_denorm_src 0
		.amdhsa_exception_fp_ieee_div_zero 0
		.amdhsa_exception_fp_ieee_overflow 0
		.amdhsa_exception_fp_ieee_underflow 0
		.amdhsa_exception_fp_ieee_inexact 0
		.amdhsa_exception_int_div_zero 0
	.end_amdhsa_kernel
	.text
.Lfunc_end0:
	.size	fft_rtc_fwd_len1782_factors_11_3_3_3_3_2_wgs_99_tpt_99_halfLds_half_op_CI_CI_unitstride_sbrr_R2C_dirReg, .Lfunc_end0-fft_rtc_fwd_len1782_factors_11_3_3_3_3_2_wgs_99_tpt_99_halfLds_half_op_CI_CI_unitstride_sbrr_R2C_dirReg
                                        ; -- End function
	.section	.AMDGPU.csdata,"",@progbits
; Kernel info:
; codeLenInByte = 17284
; NumSgprs: 41
; NumVgprs: 94
; ScratchSize: 0
; MemoryBound: 0
; FloatMode: 240
; IeeeMode: 1
; LDSByteSize: 0 bytes/workgroup (compile time only)
; SGPRBlocks: 5
; VGPRBlocks: 11
; NumSGPRsForWavesPerEU: 41
; NumVGPRsForWavesPerEU: 94
; Occupancy: 16
; WaveLimiterHint : 1
; COMPUTE_PGM_RSRC2:SCRATCH_EN: 0
; COMPUTE_PGM_RSRC2:USER_SGPR: 2
; COMPUTE_PGM_RSRC2:TRAP_HANDLER: 0
; COMPUTE_PGM_RSRC2:TGID_X_EN: 1
; COMPUTE_PGM_RSRC2:TGID_Y_EN: 0
; COMPUTE_PGM_RSRC2:TGID_Z_EN: 0
; COMPUTE_PGM_RSRC2:TIDIG_COMP_CNT: 0
	.text
	.p2alignl 7, 3214868480
	.fill 96, 4, 3214868480
	.type	__hip_cuid_79f56e1310857189,@object ; @__hip_cuid_79f56e1310857189
	.section	.bss,"aw",@nobits
	.globl	__hip_cuid_79f56e1310857189
__hip_cuid_79f56e1310857189:
	.byte	0                               ; 0x0
	.size	__hip_cuid_79f56e1310857189, 1

	.ident	"AMD clang version 19.0.0git (https://github.com/RadeonOpenCompute/llvm-project roc-6.4.0 25133 c7fe45cf4b819c5991fe208aaa96edf142730f1d)"
	.section	".note.GNU-stack","",@progbits
	.addrsig
	.addrsig_sym __hip_cuid_79f56e1310857189
	.amdgpu_metadata
---
amdhsa.kernels:
  - .args:
      - .actual_access:  read_only
        .address_space:  global
        .offset:         0
        .size:           8
        .value_kind:     global_buffer
      - .offset:         8
        .size:           8
        .value_kind:     by_value
      - .actual_access:  read_only
        .address_space:  global
        .offset:         16
        .size:           8
        .value_kind:     global_buffer
      - .actual_access:  read_only
        .address_space:  global
        .offset:         24
        .size:           8
        .value_kind:     global_buffer
      - .actual_access:  read_only
        .address_space:  global
        .offset:         32
        .size:           8
        .value_kind:     global_buffer
      - .offset:         40
        .size:           8
        .value_kind:     by_value
      - .actual_access:  read_only
        .address_space:  global
        .offset:         48
        .size:           8
        .value_kind:     global_buffer
      - .actual_access:  read_only
        .address_space:  global
        .offset:         56
        .size:           8
        .value_kind:     global_buffer
      - .offset:         64
        .size:           4
        .value_kind:     by_value
      - .actual_access:  read_only
        .address_space:  global
        .offset:         72
        .size:           8
        .value_kind:     global_buffer
      - .actual_access:  read_only
        .address_space:  global
        .offset:         80
        .size:           8
        .value_kind:     global_buffer
      - .actual_access:  read_only
        .address_space:  global
        .offset:         88
        .size:           8
        .value_kind:     global_buffer
      - .actual_access:  write_only
        .address_space:  global
        .offset:         96
        .size:           8
        .value_kind:     global_buffer
    .group_segment_fixed_size: 0
    .kernarg_segment_align: 8
    .kernarg_segment_size: 104
    .language:       OpenCL C
    .language_version:
      - 2
      - 0
    .max_flat_workgroup_size: 99
    .name:           fft_rtc_fwd_len1782_factors_11_3_3_3_3_2_wgs_99_tpt_99_halfLds_half_op_CI_CI_unitstride_sbrr_R2C_dirReg
    .private_segment_fixed_size: 0
    .sgpr_count:     41
    .sgpr_spill_count: 0
    .symbol:         fft_rtc_fwd_len1782_factors_11_3_3_3_3_2_wgs_99_tpt_99_halfLds_half_op_CI_CI_unitstride_sbrr_R2C_dirReg.kd
    .uniform_work_group_size: 1
    .uses_dynamic_stack: false
    .vgpr_count:     94
    .vgpr_spill_count: 0
    .wavefront_size: 32
    .workgroup_processor_mode: 1
amdhsa.target:   amdgcn-amd-amdhsa--gfx1201
amdhsa.version:
  - 1
  - 2
...

	.end_amdgpu_metadata
